;; amdgpu-corpus repo=ROCm/rocFFT kind=compiled arch=gfx1201 opt=O3
	.text
	.amdgcn_target "amdgcn-amd-amdhsa--gfx1201"
	.amdhsa_code_object_version 6
	.protected	fft_rtc_back_len150_factors_10_5_3_wgs_60_tpt_5_halfLds_dp_ip_CI_unitstride_sbrr_C2R_dirReg ; -- Begin function fft_rtc_back_len150_factors_10_5_3_wgs_60_tpt_5_halfLds_dp_ip_CI_unitstride_sbrr_C2R_dirReg
	.globl	fft_rtc_back_len150_factors_10_5_3_wgs_60_tpt_5_halfLds_dp_ip_CI_unitstride_sbrr_C2R_dirReg
	.p2align	8
	.type	fft_rtc_back_len150_factors_10_5_3_wgs_60_tpt_5_halfLds_dp_ip_CI_unitstride_sbrr_C2R_dirReg,@function
fft_rtc_back_len150_factors_10_5_3_wgs_60_tpt_5_halfLds_dp_ip_CI_unitstride_sbrr_C2R_dirReg: ; @fft_rtc_back_len150_factors_10_5_3_wgs_60_tpt_5_halfLds_dp_ip_CI_unitstride_sbrr_C2R_dirReg
; %bb.0:
	s_load_b128 s[4:7], s[0:1], 0x0
	v_mul_u32_u24_e32 v1, 0x3334, v0
	s_clause 0x1
	s_load_b64 s[8:9], s[0:1], 0x50
	s_load_b64 s[10:11], s[0:1], 0x18
	v_mov_b32_e32 v5, 0
	v_lshrrev_b32_e32 v1, 16, v1
	s_delay_alu instid0(VALU_DEP_1) | instskip(SKIP_3) | instid1(VALU_DEP_1)
	v_mad_co_u64_u32 v[1:2], null, ttmp9, 12, v[1:2]
	v_mov_b32_e32 v3, 0
	v_mov_b32_e32 v4, 0
	;; [unrolled: 1-line block ×4, first 2 shown]
	s_wait_kmcnt 0x0
	v_cmp_lt_u64_e64 s2, s[6:7], 2
	v_mov_b32_e32 v9, v1
	s_delay_alu instid0(VALU_DEP_2)
	s_and_b32 vcc_lo, exec_lo, s2
	s_cbranch_vccnz .LBB0_8
; %bb.1:
	s_load_b64 s[2:3], s[0:1], 0x10
	v_dual_mov_b32 v3, 0 :: v_dual_mov_b32 v8, v2
	v_dual_mov_b32 v4, 0 :: v_dual_mov_b32 v7, v1
	s_add_nc_u64 s[12:13], s[10:11], 8
	s_mov_b64 s[14:15], 1
	s_wait_kmcnt 0x0
	s_add_nc_u64 s[16:17], s[2:3], 8
	s_mov_b32 s3, 0
.LBB0_2:                                ; =>This Inner Loop Header: Depth=1
	s_load_b64 s[18:19], s[16:17], 0x0
                                        ; implicit-def: $vgpr9_vgpr10
	s_mov_b32 s2, exec_lo
	s_wait_kmcnt 0x0
	v_or_b32_e32 v6, s19, v8
	s_delay_alu instid0(VALU_DEP_1)
	v_cmpx_ne_u64_e32 0, v[5:6]
	s_wait_alu 0xfffe
	s_xor_b32 s20, exec_lo, s2
	s_cbranch_execz .LBB0_4
; %bb.3:                                ;   in Loop: Header=BB0_2 Depth=1
	s_cvt_f32_u32 s2, s18
	s_cvt_f32_u32 s21, s19
	s_sub_nc_u64 s[24:25], 0, s[18:19]
	s_wait_alu 0xfffe
	s_delay_alu instid0(SALU_CYCLE_1) | instskip(SKIP_1) | instid1(SALU_CYCLE_2)
	s_fmamk_f32 s2, s21, 0x4f800000, s2
	s_wait_alu 0xfffe
	v_s_rcp_f32 s2, s2
	s_delay_alu instid0(TRANS32_DEP_1) | instskip(SKIP_1) | instid1(SALU_CYCLE_2)
	s_mul_f32 s2, s2, 0x5f7ffffc
	s_wait_alu 0xfffe
	s_mul_f32 s21, s2, 0x2f800000
	s_wait_alu 0xfffe
	s_delay_alu instid0(SALU_CYCLE_2) | instskip(SKIP_1) | instid1(SALU_CYCLE_2)
	s_trunc_f32 s21, s21
	s_wait_alu 0xfffe
	s_fmamk_f32 s2, s21, 0xcf800000, s2
	s_cvt_u32_f32 s23, s21
	s_wait_alu 0xfffe
	s_delay_alu instid0(SALU_CYCLE_1) | instskip(SKIP_1) | instid1(SALU_CYCLE_2)
	s_cvt_u32_f32 s22, s2
	s_wait_alu 0xfffe
	s_mul_u64 s[26:27], s[24:25], s[22:23]
	s_wait_alu 0xfffe
	s_mul_hi_u32 s29, s22, s27
	s_mul_i32 s28, s22, s27
	s_mul_hi_u32 s2, s22, s26
	s_mul_i32 s30, s23, s26
	s_wait_alu 0xfffe
	s_add_nc_u64 s[28:29], s[2:3], s[28:29]
	s_mul_hi_u32 s21, s23, s26
	s_mul_hi_u32 s31, s23, s27
	s_add_co_u32 s2, s28, s30
	s_wait_alu 0xfffe
	s_add_co_ci_u32 s2, s29, s21
	s_mul_i32 s26, s23, s27
	s_add_co_ci_u32 s27, s31, 0
	s_wait_alu 0xfffe
	s_add_nc_u64 s[26:27], s[2:3], s[26:27]
	s_wait_alu 0xfffe
	v_add_co_u32 v2, s2, s22, s26
	s_delay_alu instid0(VALU_DEP_1) | instskip(SKIP_1) | instid1(VALU_DEP_1)
	s_cmp_lg_u32 s2, 0
	s_add_co_ci_u32 s23, s23, s27
	v_readfirstlane_b32 s22, v2
	s_wait_alu 0xfffe
	s_delay_alu instid0(VALU_DEP_1)
	s_mul_u64 s[24:25], s[24:25], s[22:23]
	s_wait_alu 0xfffe
	s_mul_hi_u32 s27, s22, s25
	s_mul_i32 s26, s22, s25
	s_mul_hi_u32 s2, s22, s24
	s_mul_i32 s28, s23, s24
	s_wait_alu 0xfffe
	s_add_nc_u64 s[26:27], s[2:3], s[26:27]
	s_mul_hi_u32 s21, s23, s24
	s_mul_hi_u32 s22, s23, s25
	s_wait_alu 0xfffe
	s_add_co_u32 s2, s26, s28
	s_add_co_ci_u32 s2, s27, s21
	s_mul_i32 s24, s23, s25
	s_add_co_ci_u32 s25, s22, 0
	s_wait_alu 0xfffe
	s_add_nc_u64 s[24:25], s[2:3], s[24:25]
	s_wait_alu 0xfffe
	v_add_co_u32 v2, s2, v2, s24
	s_delay_alu instid0(VALU_DEP_1) | instskip(SKIP_1) | instid1(VALU_DEP_1)
	s_cmp_lg_u32 s2, 0
	s_add_co_ci_u32 s2, s23, s25
	v_mul_hi_u32 v6, v7, v2
	s_wait_alu 0xfffe
	v_mad_co_u64_u32 v[9:10], null, v7, s2, 0
	v_mad_co_u64_u32 v[11:12], null, v8, v2, 0
	;; [unrolled: 1-line block ×3, first 2 shown]
	s_delay_alu instid0(VALU_DEP_3) | instskip(SKIP_1) | instid1(VALU_DEP_4)
	v_add_co_u32 v2, vcc_lo, v6, v9
	s_wait_alu 0xfffd
	v_add_co_ci_u32_e32 v6, vcc_lo, 0, v10, vcc_lo
	s_delay_alu instid0(VALU_DEP_2) | instskip(SKIP_1) | instid1(VALU_DEP_2)
	v_add_co_u32 v2, vcc_lo, v2, v11
	s_wait_alu 0xfffd
	v_add_co_ci_u32_e32 v2, vcc_lo, v6, v12, vcc_lo
	s_wait_alu 0xfffd
	v_add_co_ci_u32_e32 v6, vcc_lo, 0, v14, vcc_lo
	s_delay_alu instid0(VALU_DEP_2) | instskip(SKIP_1) | instid1(VALU_DEP_2)
	v_add_co_u32 v2, vcc_lo, v2, v13
	s_wait_alu 0xfffd
	v_add_co_ci_u32_e32 v6, vcc_lo, 0, v6, vcc_lo
	s_delay_alu instid0(VALU_DEP_2) | instskip(SKIP_1) | instid1(VALU_DEP_3)
	v_mul_lo_u32 v11, s19, v2
	v_mad_co_u64_u32 v[9:10], null, s18, v2, 0
	v_mul_lo_u32 v12, s18, v6
	s_delay_alu instid0(VALU_DEP_2) | instskip(NEXT) | instid1(VALU_DEP_2)
	v_sub_co_u32 v9, vcc_lo, v7, v9
	v_add3_u32 v10, v10, v12, v11
	s_delay_alu instid0(VALU_DEP_1) | instskip(SKIP_1) | instid1(VALU_DEP_1)
	v_sub_nc_u32_e32 v11, v8, v10
	s_wait_alu 0xfffd
	v_subrev_co_ci_u32_e64 v11, s2, s19, v11, vcc_lo
	v_add_co_u32 v12, s2, v2, 2
	s_wait_alu 0xf1ff
	v_add_co_ci_u32_e64 v13, s2, 0, v6, s2
	v_sub_co_u32 v14, s2, v9, s18
	v_sub_co_ci_u32_e32 v10, vcc_lo, v8, v10, vcc_lo
	s_wait_alu 0xf1ff
	v_subrev_co_ci_u32_e64 v11, s2, 0, v11, s2
	s_delay_alu instid0(VALU_DEP_3) | instskip(NEXT) | instid1(VALU_DEP_3)
	v_cmp_le_u32_e32 vcc_lo, s18, v14
	v_cmp_eq_u32_e64 s2, s19, v10
	s_wait_alu 0xfffd
	v_cndmask_b32_e64 v14, 0, -1, vcc_lo
	v_cmp_le_u32_e32 vcc_lo, s19, v11
	s_wait_alu 0xfffd
	v_cndmask_b32_e64 v15, 0, -1, vcc_lo
	v_cmp_le_u32_e32 vcc_lo, s18, v9
	;; [unrolled: 3-line block ×3, first 2 shown]
	s_wait_alu 0xfffd
	v_cndmask_b32_e64 v16, 0, -1, vcc_lo
	v_cmp_eq_u32_e32 vcc_lo, s19, v11
	s_wait_alu 0xf1ff
	s_delay_alu instid0(VALU_DEP_2)
	v_cndmask_b32_e64 v9, v16, v9, s2
	s_wait_alu 0xfffd
	v_cndmask_b32_e32 v11, v15, v14, vcc_lo
	v_add_co_u32 v14, vcc_lo, v2, 1
	s_wait_alu 0xfffd
	v_add_co_ci_u32_e32 v15, vcc_lo, 0, v6, vcc_lo
	s_delay_alu instid0(VALU_DEP_3) | instskip(SKIP_1) | instid1(VALU_DEP_2)
	v_cmp_ne_u32_e32 vcc_lo, 0, v11
	s_wait_alu 0xfffd
	v_dual_cndmask_b32 v10, v15, v13 :: v_dual_cndmask_b32 v11, v14, v12
	v_cmp_ne_u32_e32 vcc_lo, 0, v9
	s_wait_alu 0xfffd
	s_delay_alu instid0(VALU_DEP_2) | instskip(NEXT) | instid1(VALU_DEP_3)
	v_cndmask_b32_e32 v10, v6, v10, vcc_lo
	v_cndmask_b32_e32 v9, v2, v11, vcc_lo
.LBB0_4:                                ;   in Loop: Header=BB0_2 Depth=1
	s_wait_alu 0xfffe
	s_and_not1_saveexec_b32 s2, s20
	s_cbranch_execz .LBB0_6
; %bb.5:                                ;   in Loop: Header=BB0_2 Depth=1
	v_cvt_f32_u32_e32 v2, s18
	s_sub_co_i32 s20, 0, s18
	s_delay_alu instid0(VALU_DEP_1) | instskip(NEXT) | instid1(TRANS32_DEP_1)
	v_rcp_iflag_f32_e32 v2, v2
	v_mul_f32_e32 v2, 0x4f7ffffe, v2
	s_delay_alu instid0(VALU_DEP_1) | instskip(SKIP_1) | instid1(VALU_DEP_1)
	v_cvt_u32_f32_e32 v2, v2
	s_wait_alu 0xfffe
	v_mul_lo_u32 v6, s20, v2
	s_delay_alu instid0(VALU_DEP_1) | instskip(NEXT) | instid1(VALU_DEP_1)
	v_mul_hi_u32 v6, v2, v6
	v_add_nc_u32_e32 v2, v2, v6
	s_delay_alu instid0(VALU_DEP_1) | instskip(NEXT) | instid1(VALU_DEP_1)
	v_mul_hi_u32 v2, v7, v2
	v_mul_lo_u32 v6, v2, s18
	v_add_nc_u32_e32 v9, 1, v2
	s_delay_alu instid0(VALU_DEP_2) | instskip(NEXT) | instid1(VALU_DEP_1)
	v_sub_nc_u32_e32 v6, v7, v6
	v_subrev_nc_u32_e32 v10, s18, v6
	v_cmp_le_u32_e32 vcc_lo, s18, v6
	s_wait_alu 0xfffd
	s_delay_alu instid0(VALU_DEP_2) | instskip(SKIP_2) | instid1(VALU_DEP_3)
	v_cndmask_b32_e32 v6, v6, v10, vcc_lo
	v_mov_b32_e32 v10, v5
	v_cndmask_b32_e32 v2, v2, v9, vcc_lo
	v_cmp_le_u32_e32 vcc_lo, s18, v6
	s_delay_alu instid0(VALU_DEP_2) | instskip(SKIP_1) | instid1(VALU_DEP_1)
	v_add_nc_u32_e32 v9, 1, v2
	s_wait_alu 0xfffd
	v_cndmask_b32_e32 v9, v2, v9, vcc_lo
.LBB0_6:                                ;   in Loop: Header=BB0_2 Depth=1
	s_wait_alu 0xfffe
	s_or_b32 exec_lo, exec_lo, s2
	s_load_b64 s[20:21], s[12:13], 0x0
	v_mul_lo_u32 v2, v10, s18
	v_mul_lo_u32 v6, v9, s19
	v_mad_co_u64_u32 v[11:12], null, v9, s18, 0
	s_add_nc_u64 s[14:15], s[14:15], 1
	s_add_nc_u64 s[12:13], s[12:13], 8
	s_wait_alu 0xfffe
	v_cmp_ge_u64_e64 s2, s[14:15], s[6:7]
	s_add_nc_u64 s[16:17], s[16:17], 8
	s_delay_alu instid0(VALU_DEP_2) | instskip(NEXT) | instid1(VALU_DEP_3)
	v_add3_u32 v2, v12, v6, v2
	v_sub_co_u32 v6, vcc_lo, v7, v11
	s_wait_alu 0xfffd
	s_delay_alu instid0(VALU_DEP_2) | instskip(SKIP_3) | instid1(VALU_DEP_2)
	v_sub_co_ci_u32_e32 v2, vcc_lo, v8, v2, vcc_lo
	s_and_b32 vcc_lo, exec_lo, s2
	s_wait_kmcnt 0x0
	v_mul_lo_u32 v7, s21, v6
	v_mul_lo_u32 v2, s20, v2
	v_mad_co_u64_u32 v[3:4], null, s20, v6, v[3:4]
	s_delay_alu instid0(VALU_DEP_1)
	v_add3_u32 v4, v7, v4, v2
	s_wait_alu 0xfffe
	s_cbranch_vccnz .LBB0_8
; %bb.7:                                ;   in Loop: Header=BB0_2 Depth=1
	v_dual_mov_b32 v7, v9 :: v_dual_mov_b32 v8, v10
	s_branch .LBB0_2
.LBB0_8:
	s_lshl_b64 s[2:3], s[6:7], 3
	v_mul_hi_u32 v2, 0xaaaaaaab, v1
	s_wait_alu 0xfffe
	s_add_nc_u64 s[2:3], s[10:11], s[2:3]
	s_load_b64 s[0:1], s[0:1], 0x20
	s_load_b64 s[2:3], s[2:3], 0x0
	v_mul_hi_u32 v5, 0x33333334, v0
	s_delay_alu instid0(VALU_DEP_2) | instskip(NEXT) | instid1(VALU_DEP_2)
	v_lshrrev_b32_e32 v2, 3, v2
	v_mul_u32_u24_e32 v5, 5, v5
	s_delay_alu instid0(VALU_DEP_2) | instskip(NEXT) | instid1(VALU_DEP_2)
	v_mul_lo_u32 v2, v2, 12
	v_sub_nc_u32_e32 v92, v0, v5
	s_delay_alu instid0(VALU_DEP_2)
	v_sub_nc_u32_e32 v1, v1, v2
	s_wait_kmcnt 0x0
	v_cmp_gt_u64_e32 vcc_lo, s[0:1], v[9:10]
	v_mul_lo_u32 v6, s2, v10
	v_mul_lo_u32 v7, s3, v9
	v_mad_co_u64_u32 v[3:4], null, s2, v9, v[3:4]
	v_mul_u32_u24_e32 v2, 0x97, v1
	s_delay_alu instid0(VALU_DEP_1) | instskip(NEXT) | instid1(VALU_DEP_3)
	v_lshlrev_b32_e32 v238, 4, v2
	v_add3_u32 v4, v7, v4, v6
	s_delay_alu instid0(VALU_DEP_1)
	v_lshlrev_b64_e32 v[0:1], 4, v[3:4]
	scratch_store_b64 off, v[0:1], off      ; 8-byte Folded Spill
	s_and_saveexec_b32 s1, vcc_lo
	s_cbranch_execz .LBB0_12
; %bb.9:
	scratch_load_b64 v[0:1], off, off       ; 8-byte Folded Reload
	v_mov_b32_e32 v93, 0
	s_delay_alu instid0(VALU_DEP_1) | instskip(SKIP_4) | instid1(VALU_DEP_2)
	v_lshlrev_b64_e32 v[3:4], 4, v[92:93]
	s_wait_loadcnt 0x0
	v_add_co_u32 v0, s0, s8, v0
	s_wait_alu 0xf1ff
	v_add_co_ci_u32_e64 v1, s0, s9, v1, s0
	v_add_co_u32 v124, s0, v0, v3
	s_wait_alu 0xf1ff
	s_delay_alu instid0(VALU_DEP_2)
	v_add_co_ci_u32_e64 v125, s0, v1, v4, s0
	v_lshlrev_b32_e32 v3, 4, v92
	v_cmp_eq_u32_e64 s0, 4, v92
	s_clause 0x1d
	global_load_b128 v[4:7], v[124:125], off
	global_load_b128 v[8:11], v[124:125], off offset:80
	global_load_b128 v[12:15], v[124:125], off offset:160
	;; [unrolled: 1-line block ×29, first 2 shown]
	v_add3_u32 v3, 0, v238, v3
	s_wait_loadcnt 0x1d
	ds_store_b128 v3, v[4:7]
	s_wait_loadcnt 0x1c
	ds_store_b128 v3, v[8:11] offset:80
	s_wait_loadcnt 0x1b
	ds_store_b128 v3, v[12:15] offset:160
	;; [unrolled: 2-line block ×29, first 2 shown]
	s_and_saveexec_b32 s2, s0
	s_cbranch_execz .LBB0_11
; %bb.10:
	global_load_b128 v[4:7], v[0:1], off offset:2400
	v_mov_b32_e32 v92, 4
	s_wait_loadcnt 0x0
	ds_store_b128 v3, v[4:7] offset:2336
.LBB0_11:
	s_wait_alu 0xfffe
	s_or_b32 exec_lo, exec_lo, s2
.LBB0_12:
	s_wait_alu 0xfffe
	s_or_b32 exec_lo, exec_lo, s1
	v_lshl_add_u32 v236, v2, 4, 0
	v_lshlrev_b32_e32 v10, 4, v92
	global_wb scope:SCOPE_SE
	s_wait_storecnt_dscnt 0x0
	s_barrier_signal -1
	s_barrier_wait -1
	global_inv scope:SCOPE_SE
	v_add_nc_u32_e32 v237, v236, v10
	v_sub_nc_u32_e32 v11, v236, v10
	s_mov_b32 s1, exec_lo
                                        ; implicit-def: $vgpr4_vgpr5
	ds_load_b64 v[6:7], v237
	ds_load_b64 v[8:9], v11 offset:2400
	s_wait_dscnt 0x0
	v_add_f64_e32 v[0:1], v[6:7], v[8:9]
	v_add_f64_e64 v[2:3], v[6:7], -v[8:9]
	v_cmpx_ne_u32_e32 0, v92
	s_wait_alu 0xfffe
	s_xor_b32 s1, exec_lo, s1
	s_cbranch_execz .LBB0_14
; %bb.13:
	v_mov_b32_e32 v93, 0
	v_add_f64_e32 v[14:15], v[6:7], v[8:9]
	v_add_f64_e64 v[16:17], v[6:7], -v[8:9]
	s_delay_alu instid0(VALU_DEP_3) | instskip(NEXT) | instid1(VALU_DEP_1)
	v_lshlrev_b64_e32 v[0:1], 4, v[92:93]
	v_add_co_u32 v0, s0, s4, v0
	s_wait_alu 0xf1ff
	s_delay_alu instid0(VALU_DEP_2)
	v_add_co_ci_u32_e64 v1, s0, s5, v1, s0
	global_load_b128 v[2:5], v[0:1], off offset:2240
	ds_load_b64 v[0:1], v11 offset:2408
	ds_load_b64 v[12:13], v237 offset:8
	s_wait_dscnt 0x0
	v_add_f64_e32 v[6:7], v[0:1], v[12:13]
	v_add_f64_e64 v[0:1], v[12:13], -v[0:1]
	s_wait_loadcnt 0x0
	v_fma_f64 v[8:9], v[16:17], v[4:5], v[14:15]
	v_fma_f64 v[12:13], -v[16:17], v[4:5], v[14:15]
	s_delay_alu instid0(VALU_DEP_3) | instskip(SKIP_1) | instid1(VALU_DEP_4)
	v_fma_f64 v[14:15], v[6:7], v[4:5], -v[0:1]
	v_fma_f64 v[4:5], v[6:7], v[4:5], v[0:1]
	v_fma_f64 v[0:1], -v[6:7], v[2:3], v[8:9]
	s_delay_alu instid0(VALU_DEP_4) | instskip(NEXT) | instid1(VALU_DEP_4)
	v_fma_f64 v[6:7], v[6:7], v[2:3], v[12:13]
	v_fma_f64 v[8:9], v[16:17], v[2:3], v[14:15]
	s_delay_alu instid0(VALU_DEP_4)
	v_fma_f64 v[2:3], v[16:17], v[2:3], v[4:5]
	v_dual_mov_b32 v4, v92 :: v_dual_mov_b32 v5, v93
	ds_store_b128 v11, v[6:9] offset:2400
.LBB0_14:
	s_wait_alu 0xfffe
	s_and_not1_saveexec_b32 s0, s1
	s_cbranch_execz .LBB0_16
; %bb.15:
	ds_load_b128 v[4:7], v236 offset:1200
	s_wait_dscnt 0x0
	v_add_f64_e32 v[12:13], v[4:5], v[4:5]
	v_mul_f64_e32 v[14:15], -2.0, v[6:7]
	v_mov_b32_e32 v4, 0
	v_mov_b32_e32 v5, 0
	ds_store_b128 v236, v[12:15] offset:1200
.LBB0_16:
	s_wait_alu 0xfffe
	s_or_b32 exec_lo, exec_lo, s0
	v_lshlrev_b64_e32 v[4:5], 4, v[4:5]
	s_add_nc_u64 s[0:1], s[4:5], 0x8c0
	v_add3_u32 v93, 0, v10, v238
	s_mov_b32 s12, 0x134454ff
	s_mov_b32 s13, 0xbfee6f0e
	;; [unrolled: 1-line block ×3, first 2 shown]
	s_wait_alu 0xfffe
	v_add_co_u32 v4, s0, s0, v4
	s_wait_alu 0xf1ff
	v_add_co_ci_u32_e64 v5, s0, s1, v5, s0
	s_mov_b32 s14, s12
	s_mov_b32 s6, 0x4755a5e
	;; [unrolled: 1-line block ×3, first 2 shown]
	s_clause 0x1
	global_load_b128 v[6:9], v[4:5], off offset:80
	global_load_b128 v[12:15], v[4:5], off offset:160
	ds_store_b128 v237, v[0:3]
	ds_load_b128 v[0:3], v237 offset:80
	ds_load_b128 v[16:19], v11 offset:2320
	global_load_b128 v[20:23], v[4:5], off offset:240
	s_mov_b32 s11, 0x3fe2cf23
	s_wait_alu 0xfffe
	s_mov_b32 s10, s6
	s_mov_b32 s2, 0x372fe950
	;; [unrolled: 1-line block ×4, first 2 shown]
	s_wait_alu 0xfffe
	s_mov_b32 s16, s2
	s_mov_b32 s18, 0x9b97f4a8
	;; [unrolled: 1-line block ×4, first 2 shown]
	s_wait_alu 0xfffe
	s_mov_b32 s0, s18
	s_wait_dscnt 0x0
	v_add_f64_e32 v[24:25], v[0:1], v[16:17]
	v_add_f64_e32 v[26:27], v[18:19], v[2:3]
	v_add_f64_e64 v[28:29], v[0:1], -v[16:17]
	v_add_f64_e64 v[0:1], v[2:3], -v[18:19]
	s_wait_loadcnt 0x2
	s_delay_alu instid0(VALU_DEP_2) | instskip(NEXT) | instid1(VALU_DEP_2)
	v_fma_f64 v[2:3], v[28:29], v[8:9], v[24:25]
	v_fma_f64 v[16:17], v[26:27], v[8:9], v[0:1]
	v_fma_f64 v[18:19], -v[28:29], v[8:9], v[24:25]
	v_fma_f64 v[8:9], v[26:27], v[8:9], -v[0:1]
	s_delay_alu instid0(VALU_DEP_4) | instskip(NEXT) | instid1(VALU_DEP_4)
	v_fma_f64 v[0:1], -v[26:27], v[6:7], v[2:3]
	v_fma_f64 v[2:3], v[28:29], v[6:7], v[16:17]
	s_delay_alu instid0(VALU_DEP_4) | instskip(NEXT) | instid1(VALU_DEP_4)
	v_fma_f64 v[16:17], v[26:27], v[6:7], v[18:19]
	v_fma_f64 v[18:19], v[28:29], v[6:7], v[8:9]
	ds_store_b128 v237, v[0:3] offset:80
	ds_store_b128 v11, v[16:19] offset:2320
	ds_load_b128 v[0:3], v237 offset:160
	ds_load_b128 v[6:9], v11 offset:2240
	global_load_b128 v[16:19], v[4:5], off offset:320
	s_wait_dscnt 0x0
	v_add_f64_e32 v[24:25], v[0:1], v[6:7]
	v_add_f64_e32 v[26:27], v[8:9], v[2:3]
	v_add_f64_e64 v[28:29], v[0:1], -v[6:7]
	v_add_f64_e64 v[0:1], v[2:3], -v[8:9]
	s_wait_loadcnt 0x2
	s_delay_alu instid0(VALU_DEP_2) | instskip(NEXT) | instid1(VALU_DEP_2)
	v_fma_f64 v[2:3], v[28:29], v[14:15], v[24:25]
	v_fma_f64 v[6:7], v[26:27], v[14:15], v[0:1]
	v_fma_f64 v[8:9], -v[28:29], v[14:15], v[24:25]
	v_fma_f64 v[14:15], v[26:27], v[14:15], -v[0:1]
	s_delay_alu instid0(VALU_DEP_4) | instskip(NEXT) | instid1(VALU_DEP_4)
	v_fma_f64 v[0:1], -v[26:27], v[12:13], v[2:3]
	v_fma_f64 v[2:3], v[28:29], v[12:13], v[6:7]
	s_delay_alu instid0(VALU_DEP_4) | instskip(NEXT) | instid1(VALU_DEP_4)
	v_fma_f64 v[6:7], v[26:27], v[12:13], v[8:9]
	v_fma_f64 v[8:9], v[28:29], v[12:13], v[14:15]
	ds_store_b128 v237, v[0:3] offset:160
	ds_store_b128 v11, v[6:9] offset:2240
	ds_load_b128 v[0:3], v237 offset:240
	ds_load_b128 v[6:9], v11 offset:2160
	global_load_b128 v[12:15], v[4:5], off offset:400
	;; [unrolled: 22-line block ×11, first 2 shown]
	s_wait_dscnt 0x0
	v_add_f64_e32 v[4:5], v[0:1], v[6:7]
	v_add_f64_e32 v[24:25], v[8:9], v[2:3]
	v_add_f64_e64 v[6:7], v[0:1], -v[6:7]
	v_add_f64_e64 v[0:1], v[2:3], -v[8:9]
	s_wait_loadcnt 0x2
	s_delay_alu instid0(VALU_DEP_2) | instskip(NEXT) | instid1(VALU_DEP_2)
	v_fma_f64 v[2:3], v[6:7], v[22:23], v[4:5]
	v_fma_f64 v[8:9], v[24:25], v[22:23], v[0:1]
	v_fma_f64 v[4:5], -v[6:7], v[22:23], v[4:5]
	v_fma_f64 v[22:23], v[24:25], v[22:23], -v[0:1]
	s_delay_alu instid0(VALU_DEP_4) | instskip(NEXT) | instid1(VALU_DEP_4)
	v_fma_f64 v[0:1], -v[24:25], v[20:21], v[2:3]
	v_fma_f64 v[2:3], v[6:7], v[20:21], v[8:9]
	s_delay_alu instid0(VALU_DEP_4) | instskip(NEXT) | instid1(VALU_DEP_4)
	v_fma_f64 v[4:5], v[24:25], v[20:21], v[4:5]
	v_fma_f64 v[6:7], v[6:7], v[20:21], v[22:23]
	ds_store_b128 v237, v[0:3] offset:960
	ds_store_b128 v11, v[4:7] offset:1440
	ds_load_b128 v[0:3], v237 offset:1040
	ds_load_b128 v[4:7], v11 offset:1360
	s_wait_dscnt 0x0
	v_add_f64_e32 v[8:9], v[0:1], v[4:5]
	v_add_f64_e32 v[20:21], v[6:7], v[2:3]
	v_add_f64_e64 v[22:23], v[0:1], -v[4:5]
	v_add_f64_e64 v[0:1], v[2:3], -v[6:7]
	s_wait_loadcnt 0x1
	s_delay_alu instid0(VALU_DEP_2) | instskip(NEXT) | instid1(VALU_DEP_2)
	v_fma_f64 v[2:3], v[22:23], v[18:19], v[8:9]
	v_fma_f64 v[4:5], v[20:21], v[18:19], v[0:1]
	v_fma_f64 v[6:7], -v[22:23], v[18:19], v[8:9]
	v_fma_f64 v[8:9], v[20:21], v[18:19], -v[0:1]
	s_delay_alu instid0(VALU_DEP_4) | instskip(NEXT) | instid1(VALU_DEP_4)
	v_fma_f64 v[0:1], -v[20:21], v[16:17], v[2:3]
	v_fma_f64 v[2:3], v[22:23], v[16:17], v[4:5]
	s_delay_alu instid0(VALU_DEP_4) | instskip(NEXT) | instid1(VALU_DEP_4)
	v_fma_f64 v[4:5], v[20:21], v[16:17], v[6:7]
	v_fma_f64 v[6:7], v[22:23], v[16:17], v[8:9]
	ds_store_b128 v237, v[0:3] offset:1040
	ds_store_b128 v11, v[4:7] offset:1360
	ds_load_b128 v[0:3], v237 offset:1120
	ds_load_b128 v[4:7], v11 offset:1280
	s_wait_dscnt 0x0
	v_add_f64_e32 v[8:9], v[0:1], v[4:5]
	v_add_f64_e32 v[16:17], v[6:7], v[2:3]
	v_add_f64_e64 v[18:19], v[0:1], -v[4:5]
	v_add_f64_e64 v[0:1], v[2:3], -v[6:7]
	s_wait_loadcnt 0x0
	s_delay_alu instid0(VALU_DEP_2) | instskip(NEXT) | instid1(VALU_DEP_2)
	v_fma_f64 v[2:3], v[18:19], v[14:15], v[8:9]
	v_fma_f64 v[4:5], v[16:17], v[14:15], v[0:1]
	v_fma_f64 v[6:7], -v[18:19], v[14:15], v[8:9]
	v_fma_f64 v[8:9], v[16:17], v[14:15], -v[0:1]
	s_delay_alu instid0(VALU_DEP_4) | instskip(NEXT) | instid1(VALU_DEP_4)
	v_fma_f64 v[0:1], -v[16:17], v[12:13], v[2:3]
	v_fma_f64 v[2:3], v[18:19], v[12:13], v[4:5]
	s_delay_alu instid0(VALU_DEP_4) | instskip(NEXT) | instid1(VALU_DEP_4)
	v_fma_f64 v[4:5], v[16:17], v[12:13], v[6:7]
	v_fma_f64 v[6:7], v[18:19], v[12:13], v[8:9]
	ds_store_b128 v237, v[0:3] offset:1120
	ds_store_b128 v11, v[4:7] offset:1280
	global_wb scope:SCOPE_SE
	s_wait_dscnt 0x0
	s_barrier_signal -1
	s_barrier_wait -1
	global_inv scope:SCOPE_SE
	global_wb scope:SCOPE_SE
	s_barrier_signal -1
	s_barrier_wait -1
	global_inv scope:SCOPE_SE
	ds_load_b128 v[48:51], v237
	ds_load_b128 v[52:55], v93 offset:80
	ds_load_b128 v[80:83], v93 offset:480
	ds_load_b128 v[76:79], v93 offset:560
	ds_load_b128 v[84:87], v93 offset:960
	ds_load_b128 v[72:75], v93 offset:1040
	ds_load_b128 v[8:11], v93 offset:1440
	ds_load_b128 v[12:15], v93 offset:1520
	ds_load_b128 v[64:67], v93 offset:240
	ds_load_b128 v[56:59], v93 offset:160
	ds_load_b128 v[102:105], v93 offset:720
	ds_load_b128 v[60:63], v93 offset:640
	ds_load_b128 v[0:3], v93 offset:1920
	ds_load_b128 v[4:7], v93 offset:2000
	ds_load_b128 v[88:91], v93 offset:1200
	ds_load_b128 v[68:71], v93 offset:1120
	ds_load_b128 v[28:31], v93 offset:1680
	ds_load_b128 v[24:27], v93 offset:1600
	ds_load_b128 v[20:23], v93 offset:2160
	ds_load_b128 v[16:19], v93 offset:2080
	ds_load_b128 v[150:153], v93 offset:320
	ds_load_b128 v[166:169], v93 offset:400
	ds_load_b128 v[126:129], v93 offset:800
	ds_load_b128 v[176:179], v93 offset:880
	ds_load_b128 v[146:149], v93 offset:1280
	ds_load_b128 v[180:183], v93 offset:1360
	ds_load_b128 v[44:47], v93 offset:1760
	ds_load_b128 v[40:43], v93 offset:1840
	ds_load_b128 v[36:39], v93 offset:2240
	ds_load_b128 v[32:35], v93 offset:2320
	s_wait_dscnt 0x1b
	v_add_f64_e32 v[116:117], v[48:49], v[80:81]
	v_add_f64_e32 v[118:119], v[50:51], v[82:83]
	s_wait_dscnt 0x13
	v_add_f64_e32 v[120:121], v[64:65], v[102:103]
	v_add_f64_e32 v[122:123], v[84:85], v[8:9]
	v_add_f64_e64 v[158:159], v[80:81], -v[84:85]
	s_wait_dscnt 0x11
	v_add_f64_e64 v[204:205], v[0:1], -v[8:9]
	v_add_f64_e32 v[124:125], v[80:81], v[0:1]
	v_add_f64_e32 v[132:133], v[82:83], v[2:3]
	s_wait_dscnt 0xd
	v_add_f64_e32 v[138:139], v[88:89], v[28:29]
	v_add_f64_e64 v[226:227], v[102:103], -v[88:89]
	v_add_f64_e32 v[142:143], v[54:55], v[78:79]
	s_wait_dscnt 0xb
	v_add_f64_e32 v[144:145], v[102:103], v[20:21]
	v_add_f64_e32 v[154:155], v[104:105], v[22:23]
	v_add_f64_e64 v[239:240], v[20:21], -v[28:29]
	v_add_f64_e32 v[160:161], v[74:75], v[14:15]
	v_add_f64_e64 v[198:199], v[78:79], -v[74:75]
	v_add_f64_e64 v[210:211], v[74:75], -v[78:79]
	;; [unrolled: 1-line block ×3, first 2 shown]
	v_add_f64_e32 v[164:165], v[78:79], v[6:7]
	s_wait_dscnt 0x7
	v_add_f64_e32 v[172:173], v[152:153], v[128:129]
	s_wait_dscnt 0x3
	;; [unrolled: 2-line block ×3, first 2 shown]
	v_add_f64_e32 v[188:189], v[126:127], v[36:37]
	v_add_f64_e64 v[96:97], v[86:87], -v[10:11]
	v_add_f64_e64 v[214:215], v[84:85], -v[80:81]
	v_add_f64_e64 v[216:217], v[8:9], -v[0:1]
	v_add_f64_e32 v[130:131], v[86:87], v[10:11]
	v_add_f64_e64 v[100:101], v[80:81], -v[0:1]
	v_add_f64_e64 v[80:81], v[84:85], -v[8:9]
	;; [unrolled: 1-line block ×4, first 2 shown]
	v_add_f64_e32 v[134:135], v[66:67], v[104:105]
	v_add_f64_e32 v[140:141], v[90:91], v[30:31]
	v_add_f64_e64 v[230:231], v[104:105], -v[90:91]
	v_add_f64_e32 v[136:137], v[52:53], v[76:77]
	v_add_f64_e32 v[156:157], v[72:73], v[12:13]
	v_add_f64_e64 v[196:197], v[76:77], -v[72:73]
	v_add_f64_e64 v[208:209], v[72:73], -v[76:77]
	v_add_f64_e32 v[162:163], v[76:77], v[4:5]
	v_add_f64_e32 v[78:79], v[116:117], v[84:85]
	v_add_f64_e64 v[112:113], v[76:77], -v[4:5]
	v_add_f64_e32 v[170:171], v[150:151], v[126:127]
	v_add_f64_e64 v[76:77], v[148:149], -v[46:47]
	v_add_f64_e64 v[212:213], v[146:147], -v[126:127]
	v_add_f64_e32 v[186:187], v[148:149], v[46:47]
	v_add_f64_e32 v[190:191], v[128:129], v[38:39]
	v_add_f64_e32 v[192:193], v[56:57], v[60:61]
	v_add_f64_e32 v[194:195], v[58:59], v[62:63]
	v_add_f64_e32 v[200:201], v[68:69], v[24:25]
	v_add_f64_e32 v[202:203], v[60:61], v[16:17]
	v_add_f64_e32 v[232:233], v[70:71], v[26:27]
	v_add_f64_e32 v[84:85], v[118:119], v[86:87]
	v_add_f64_e32 v[241:242], v[62:63], v[18:19]
	v_add_f64_e32 v[86:87], v[120:121], v[88:89]
	v_fma_f64 v[118:119], v[124:125], -0.5, v[48:49]
	v_add_f64_e64 v[94:95], v[128:129], -v[148:149]
	v_fma_f64 v[124:125], v[138:139], -0.5, v[64:65]
	v_fma_f64 v[138:139], v[144:145], -0.5, v[64:65]
	;; [unrolled: 1-line block ×4, first 2 shown]
	v_add_f64_e32 v[172:173], v[172:173], v[148:149]
	v_fma_f64 v[154:155], v[188:189], -0.5, v[150:151]
	v_add_f64_e64 v[98:99], v[82:83], -v[2:3]
	v_add_f64_e64 v[82:83], v[90:91], -v[30:31]
	;; [unrolled: 1-line block ×10, first 2 shown]
	v_add_f64_e32 v[88:89], v[134:135], v[90:91]
	s_wait_dscnt 0x0
	v_add_f64_e32 v[247:248], v[176:177], v[32:33]
	v_add_f64_e32 v[134:135], v[136:137], v[72:73]
	;; [unrolled: 1-line block ×4, first 2 shown]
	scratch_store_b64 off, v[78:79], off offset:8 ; 8-byte Folded Spill
	v_fma_f64 v[78:79], v[122:123], -0.5, v[48:49]
	v_fma_f64 v[122:123], v[132:133], -0.5, v[50:51]
	v_add_f64_e64 v[48:49], v[148:149], -v[128:129]
	v_fma_f64 v[132:133], v[164:165], -0.5, v[54:55]
	v_add_f64_e64 v[164:165], v[62:63], -v[70:71]
	;; [unrolled: 2-line block ×3, first 2 shown]
	v_add_f64_e64 v[54:55], v[62:63], -v[18:19]
	v_add_f64_e64 v[62:63], v[22:23], -v[30:31]
	v_add_f64_e32 v[150:151], v[158:159], v[204:205]
	v_add_f64_e32 v[158:159], v[226:227], v[239:240]
	v_add_f64_e64 v[226:227], v[44:45], -v[36:37]
	v_add_f64_e32 v[251:252], v[166:167], v[176:177]
	v_fma_f64 v[90:91], v[130:131], -0.5, v[50:51]
	v_add_f64_e32 v[253:254], v[168:169], v[178:179]
	v_fma_f64 v[140:141], v[140:141], -0.5, v[66:67]
	v_add_f64_e64 v[50:51], v[128:129], -v[38:39]
	v_add_f64_e64 v[72:73], v[126:127], -v[36:37]
	;; [unrolled: 1-line block ×3, first 2 shown]
	v_fma_f64 v[116:117], v[156:157], -0.5, v[52:53]
	v_fma_f64 v[128:129], v[162:163], -0.5, v[52:53]
	v_add_f64_e64 v[74:75], v[70:71], -v[26:27]
	v_add_f64_e64 v[162:163], v[60:61], -v[68:69]
	v_add_f64_e32 v[170:171], v[170:171], v[146:147]
	v_add_f64_e64 v[174:175], v[68:69], -v[60:61]
	v_fma_f64 v[156:157], v[186:187], -0.5, v[152:153]
	v_fma_f64 v[160:161], v[190:191], -0.5, v[152:153]
	v_add_f64_e64 v[52:53], v[68:69], -v[24:25]
	v_fma_f64 v[126:127], v[200:201], -0.5, v[56:57]
	v_fma_f64 v[142:143], v[202:203], -0.5, v[56:57]
	;; [unrolled: 1-line block ×4, first 2 shown]
	v_add_f64_e64 v[232:233], v[176:177], -v[180:181]
	v_add_f64_e32 v[186:187], v[192:193], v[68:69]
	v_add_f64_e32 v[188:189], v[194:195], v[70:71]
	v_add_f64_e64 v[190:191], v[180:181], -v[176:177]
	v_add_f64_e64 v[202:203], v[178:179], -v[182:183]
	;; [unrolled: 1-line block ×5, first 2 shown]
	v_add_f64_e32 v[178:179], v[214:215], v[216:217]
	v_add_f64_e64 v[216:217], v[12:13], -v[4:5]
	v_add_f64_e64 v[222:223], v[2:3], -v[10:11]
	;; [unrolled: 1-line block ×3, first 2 shown]
	v_add_f64_e32 v[243:244], v[180:181], v[40:41]
	v_add_f64_e32 v[245:246], v[182:183], v[42:43]
	;; [unrolled: 1-line block ×3, first 2 shown]
	v_add_f64_e64 v[230:231], v[16:17], -v[24:25]
	v_add_f64_e64 v[56:57], v[182:183], -v[42:43]
	v_add_f64_e32 v[212:213], v[212:213], v[226:227]
	v_add_f64_e64 v[226:227], v[26:27], -v[18:19]
	v_add_f64_e64 v[62:63], v[36:37], -v[44:45]
	v_add_f64_e32 v[194:195], v[253:254], v[182:183]
	v_add_f64_e64 v[182:183], v[28:29], -v[20:21]
	v_add_f64_e32 v[192:193], v[251:252], v[180:181]
	v_add_f64_e64 v[204:205], v[30:31], -v[22:23]
	v_add_f64_e64 v[67:68], v[180:181], -v[40:41]
	v_add_f64_e32 v[10:11], v[84:85], v[10:11]
	v_add_f64_e32 v[28:29], v[86:87], v[28:29]
	v_fma_f64 v[84:85], v[114:115], s[14:15], v[140:141]
	v_fma_f64 v[86:87], v[108:109], s[12:13], v[124:125]
	;; [unrolled: 1-line block ×3, first 2 shown]
	v_add_f64_e64 v[214:215], v[38:39], -v[46:47]
	v_add_f64_e32 v[30:31], v[88:89], v[30:31]
	v_fma_f64 v[88:89], v[98:99], s[12:13], v[78:79]
	v_fma_f64 v[78:79], v[98:99], s[14:15], v[78:79]
	v_add_f64_e32 v[44:45], v[170:171], v[44:45]
	v_fma_f64 v[124:125], v[108:109], s[14:15], v[124:125]
	v_fma_f64 v[170:171], v[82:83], s[14:15], v[138:139]
	;; [unrolled: 1-line block ×3, first 2 shown]
	v_add_f64_e64 v[60:61], v[60:61], -v[16:17]
	v_add_f64_e32 v[208:209], v[208:209], v[216:217]
	v_add_f64_e32 v[152:153], v[218:219], v[222:223]
	v_add_f64_e64 v[218:219], v[4:5], -v[12:13]
	v_add_f64_e64 v[222:223], v[6:7], -v[14:15]
	v_fma_f64 v[241:242], v[243:244], -0.5, v[166:167]
	v_fma_f64 v[243:244], v[247:248], -0.5, v[166:167]
	v_add_f64_e32 v[216:217], v[162:163], v[230:231]
	v_fma_f64 v[166:167], v[245:246], -0.5, v[168:169]
	v_add_f64_e32 v[180:181], v[220:221], v[224:225]
	v_add_f64_e32 v[162:163], v[184:185], v[226:227]
	scratch_load_b64 v[184:185], off, off offset:8 th:TH_LOAD_LU ; 8-byte Folded Reload
	v_add_f64_e64 v[220:221], v[14:15], -v[6:7]
	v_add_f64_e32 v[182:183], v[228:229], v[182:183]
	v_add_f64_e32 v[206:207], v[206:207], v[62:63]
	v_add_f64_e64 v[63:64], v[18:19], -v[26:27]
	v_add_f64_e64 v[228:229], v[40:41], -v[32:33]
	v_fma_f64 v[168:169], v[249:250], -0.5, v[168:169]
	v_add_f64_e64 v[224:225], v[34:35], -v[42:43]
	v_add_f64_e32 v[12:13], v[134:135], v[12:13]
	v_add_f64_e32 v[26:27], v[188:189], v[26:27]
	;; [unrolled: 1-line block ×3, first 2 shown]
	v_fma_f64 v[136:137], v[106:107], s[12:13], v[144:145]
	v_fma_f64 v[144:145], v[106:107], s[14:15], v[144:145]
	v_add_f64_e32 v[204:205], v[234:235], v[204:205]
	v_add_f64_e64 v[234:235], v[32:33], -v[40:41]
	v_add_f64_e64 v[230:231], v[42:43], -v[34:35]
	v_add_f64_e32 v[40:41], v[192:193], v[40:41]
	v_add_f64_e32 v[42:43], v[194:195], v[42:43]
	v_fma_f64 v[134:135], v[100:101], s[14:15], v[90:91]
	v_fma_f64 v[90:91], v[100:101], s[12:13], v[90:91]
	;; [unrolled: 1-line block ×7, first 2 shown]
	v_add_f64_e32 v[10:11], v[10:11], v[2:3]
	v_fma_f64 v[148:149], v[50:51], s[14:15], v[148:149]
	v_mul_u32_u24_e32 v62, 10, v92
	v_add_f64_e32 v[214:215], v[94:95], v[214:215]
	v_fma_f64 v[78:79], v[96:97], s[10:11], v[78:79]
	v_add_f64_e32 v[196:197], v[196:197], v[218:219]
	v_add_f64_e64 v[218:219], v[46:47], -v[38:39]
	v_add_f64_e32 v[198:199], v[198:199], v[222:223]
	v_add_f64_e64 v[222:223], v[24:25], -v[16:17]
	v_add_f64_e32 v[24:25], v[186:187], v[24:25]
	v_fma_f64 v[186:187], v[72:73], s[14:15], v[156:157]
	v_add_f64_e32 v[46:47], v[172:173], v[46:47]
	v_fma_f64 v[156:157], v[72:73], s[12:13], v[156:157]
	v_fma_f64 v[172:173], v[96:97], s[14:15], v[118:119]
	v_add_f64_e32 v[210:211], v[210:211], v[220:221]
	v_fma_f64 v[118:119], v[96:97], s[12:13], v[118:119]
	v_fma_f64 v[2:3], v[58:59], s[12:13], v[241:242]
	v_add_f64_e32 v[220:221], v[164:165], v[63:64]
	v_add_f64_e32 v[164:165], v[190:191], v[228:229]
	v_fma_f64 v[190:191], v[110:111], s[12:13], v[116:117]
	v_fma_f64 v[116:117], v[110:111], s[14:15], v[116:117]
	v_add_f64_e32 v[12:13], v[12:13], v[4:5]
	v_fma_f64 v[4:5], v[67:68], s[12:13], v[168:169]
	v_fma_f64 v[168:169], v[67:68], s[14:15], v[168:169]
	v_add_f64_e32 v[26:27], v[26:27], v[18:19]
	v_fma_f64 v[18:19], v[82:83], s[6:7], v[86:87]
	v_dual_mov_b32 v64, 0 :: v_dual_lshlrev_b32 v63, 2, v92
	v_lshlrev_b32_e32 v62, 4, v62
	v_add_f64_e32 v[32:33], v[40:41], v[32:33]
	v_add_f64_e32 v[34:35], v[42:43], v[34:35]
	v_fma_f64 v[40:41], v[96:97], s[6:7], v[88:89]
	v_fma_f64 v[42:43], v[80:81], s[10:11], v[134:135]
	;; [unrolled: 1-line block ×3, first 2 shown]
	v_add_f64_e32 v[232:233], v[232:233], v[234:235]
	v_lshlrev_b64_e32 v[94:95], 4, v[63:64]
	v_add3_u32 v235, 0, v62, v238
	v_add_f64_e32 v[20:21], v[28:29], v[20:21]
	v_add_f64_e32 v[36:37], v[44:45], v[36:37]
	v_fma_f64 v[82:83], v[82:83], s[10:11], v[124:125]
	v_fma_f64 v[124:125], v[72:73], s[10:11], v[194:195]
	v_add_f64_e32 v[22:23], v[30:31], v[22:23]
	v_add_f64_e32 v[14:15], v[14:15], v[6:7]
	v_fma_f64 v[6:7], v[56:57], s[14:15], v[243:244]
	v_add_f64_e32 v[218:219], v[48:49], v[218:219]
	v_add_f64_e32 v[48:49], v[202:203], v[224:225]
	v_fma_f64 v[202:203], v[102:103], s[14:15], v[128:129]
	v_fma_f64 v[128:129], v[102:103], s[12:13], v[128:129]
	v_add_f64_e32 v[24:25], v[24:25], v[16:17]
	v_fma_f64 v[16:17], v[106:107], s[10:11], v[84:85]
	v_fma_f64 v[84:85], v[114:115], s[10:11], v[136:137]
	;; [unrolled: 1-line block ×4, first 2 shown]
	v_add_f64_e32 v[62:63], v[174:175], v[222:223]
	v_add_f64_e32 v[174:175], v[200:201], v[230:231]
	v_fma_f64 v[200:201], v[76:77], s[14:15], v[154:155]
	v_fma_f64 v[222:223], v[104:105], s[12:13], v[132:133]
	;; [unrolled: 1-line block ×4, first 2 shown]
	v_add_f64_e32 v[38:39], v[46:47], v[38:39]
	v_fma_f64 v[71:72], v[72:73], s[6:7], v[160:161]
	v_fma_f64 v[88:89], v[98:99], s[6:7], v[172:173]
	;; [unrolled: 1-line block ×20, first 2 shown]
	v_add_f64_e32 v[18:19], v[26:27], v[34:35]
	v_fma_f64 v[82:83], v[158:159], s[2:3], v[82:83]
	v_fma_f64 v[78:79], v[150:151], s[2:3], v[78:79]
	v_add_nc_u32_e32 v234, 20, v92
	v_fma_f64 v[138:139], v[110:111], s[6:7], v[202:203]
	v_fma_f64 v[110:111], v[110:111], s[10:11], v[128:129]
	;; [unrolled: 1-line block ×7, first 2 shown]
	v_add_f64_e32 v[16:17], v[24:25], v[32:33]
	global_wb scope:SCOPE_SE
	s_wait_loadcnt 0x0
	s_wait_storecnt 0x0
	v_fma_f64 v[136:137], v[50:51], s[6:7], v[200:201]
	v_fma_f64 v[140:141], v[112:113], s[10:11], v[222:223]
	;; [unrolled: 1-line block ×5, first 2 shown]
	v_add_f64_e64 v[6:7], v[10:11], -v[22:23]
	s_barrier_signal -1
	v_fma_f64 v[98:99], v[178:179], s[2:3], v[98:99]
	v_fma_f64 v[118:119], v[196:197], s[2:3], v[118:119]
	;; [unrolled: 1-line block ×3, first 2 shown]
	s_barrier_wait -1
	v_fma_f64 v[108:109], v[182:183], s[2:3], v[108:109]
	v_fma_f64 v[58:59], v[58:59], s[10:11], v[224:225]
	global_inv scope:SCOPE_SE
	v_fma_f64 v[28:29], v[74:75], s[6:7], v[28:29]
	v_fma_f64 v[73:74], v[74:75], s[10:11], v[126:127]
	;; [unrolled: 1-line block ×17, first 2 shown]
	v_add_f64_e32 v[8:9], v[184:185], v[8:9]
	v_fma_f64 v[184:185], v[80:81], s[12:13], v[122:123]
	v_fma_f64 v[122:123], v[80:81], s[14:15], v[122:123]
	;; [unrolled: 1-line block ×5, first 2 shown]
	v_add_f64_e32 v[8:9], v[8:9], v[0:1]
	v_fma_f64 v[0:1], v[69:70], s[14:15], v[166:167]
	v_fma_f64 v[166:167], v[69:70], s[12:13], v[166:167]
	;; [unrolled: 1-line block ×9, first 2 shown]
	v_add_f64_e32 v[2:3], v[10:11], v[22:23]
	v_add_f64_e32 v[10:11], v[14:15], v[38:39]
	v_add_f64_e64 v[14:15], v[14:15], -v[38:39]
	v_fma_f64 v[38:39], v[218:219], s[2:3], v[71:72]
	v_add_f64_e64 v[22:23], v[26:27], -v[34:35]
	v_fma_f64 v[34:35], v[152:153], s[2:3], v[42:43]
	v_fma_f64 v[42:43], v[174:175], s[2:3], v[128:129]
	;; [unrolled: 1-line block ×4, first 2 shown]
	v_mul_f64_e32 v[88:89], s[10:11], v[148:149]
	v_mul_f64_e32 v[128:129], s[10:11], v[96:97]
	v_fma_f64 v[80:81], v[152:153], s[2:3], v[80:81]
	v_add_f64_e64 v[4:5], v[8:9], -v[20:21]
	v_fma_f64 v[116:117], v[67:68], s[10:11], v[0:1]
	v_fma_f64 v[67:68], v[67:68], s[6:7], v[166:167]
	v_add_f64_e32 v[0:1], v[8:9], v[20:21]
	v_add_f64_e32 v[8:9], v[12:13], v[36:37]
	v_add_f64_e64 v[12:13], v[12:13], -v[36:37]
	v_fma_f64 v[36:37], v[218:219], s[2:3], v[124:125]
	v_add_f64_e64 v[20:21], v[24:25], -v[32:33]
	v_fma_f64 v[24:25], v[214:215], s[2:3], v[65:66]
	v_fma_f64 v[32:33], v[150:151], s[2:3], v[40:41]
	;; [unrolled: 1-line block ×5, first 2 shown]
	v_mul_f64_e32 v[86:87], s[6:7], v[144:145]
	v_mul_f64_e32 v[120:121], s[12:13], v[114:115]
	;; [unrolled: 1-line block ×4, first 2 shown]
	s_wait_alu 0xfffe
	v_mul_f64_e32 v[106:107], s[0:1], v[106:107]
	v_mul_f64_e32 v[126:127], s[6:7], v[90:91]
	;; [unrolled: 1-line block ×6, first 2 shown]
	v_fma_f64 v[56:57], v[232:233], s[2:3], v[56:57]
	v_fma_f64 v[88:89], v[144:145], s[18:19], v[88:89]
	;; [unrolled: 1-line block ×7, first 2 shown]
	v_mov_b32_e32 v232, v64
	v_fma_f64 v[26:27], v[48:49], s[2:3], v[116:117]
	v_fma_f64 v[48:49], v[48:49], s[2:3], v[67:68]
	v_mul_f64_e32 v[116:117], s[12:13], v[84:85]
	v_mul_f64_e32 v[84:85], s[2:3], v[84:85]
	v_fma_f64 v[67:68], v[180:181], s[2:3], v[134:135]
	v_mul_f64_e32 v[134:135], s[12:13], v[36:37]
	v_mul_f64_e32 v[36:37], s[2:3], v[36:37]
	;; [unrolled: 1-line block ×7, first 2 shown]
	v_fma_f64 v[86:87], v[148:149], s[18:19], v[86:87]
	v_fma_f64 v[96:97], v[96:97], s[18:19], v[126:127]
	;; [unrolled: 1-line block ×7, first 2 shown]
	v_mul_f64_e32 v[146:147], s[6:7], v[26:27]
	v_mul_f64_e32 v[156:157], s[6:7], v[48:49]
	;; [unrolled: 1-line block ×3, first 2 shown]
	v_fma_f64 v[116:117], v[65:66], s[2:3], v[116:117]
	v_fma_f64 v[65:66], v[65:66], s[14:15], v[84:85]
	;; [unrolled: 1-line block ×19, first 2 shown]
	v_add_f64_e32 v[24:25], v[32:33], v[86:87]
	v_add_f64_e32 v[26:27], v[34:35], v[88:89]
	v_add_f64_e64 v[28:29], v[32:33], -v[86:87]
	v_add_f64_e64 v[30:31], v[34:35], -v[88:89]
	v_add_f64_e32 v[58:59], v[122:123], v[90:91]
	v_add_f64_e64 v[60:61], v[118:119], -v[96:97]
	v_add_f64_e64 v[62:63], v[122:123], -v[90:91]
	v_fma_f64 v[146:147], v[40:41], s[18:19], v[146:147]
	v_fma_f64 v[156:157], v[56:57], s[0:1], v[156:157]
	;; [unrolled: 1-line block ×3, first 2 shown]
	v_add_f64_e32 v[32:33], v[71:72], v[116:117]
	v_add_f64_e32 v[34:35], v[67:68], v[65:66]
	v_add_f64_e64 v[36:37], v[71:72], -v[116:117]
	v_add_f64_e64 v[38:39], v[67:68], -v[65:66]
	v_add_f64_e32 v[40:41], v[98:99], v[112:113]
	v_add_f64_e32 v[42:43], v[100:101], v[108:109]
	;; [unrolled: 1-line block ×4, first 2 shown]
	v_add_f64_e64 v[44:45], v[98:99], -v[112:113]
	v_add_f64_e64 v[46:47], v[100:101], -v[108:109]
	;; [unrolled: 1-line block ×4, first 2 shown]
	v_add_f64_e32 v[56:57], v[118:119], v[96:97]
	v_add_f64_e32 v[65:66], v[138:139], v[128:129]
	;; [unrolled: 1-line block ×5, first 2 shown]
	v_add_f64_e64 v[77:78], v[84:85], -v[136:137]
	v_add_f64_e32 v[81:82], v[102:103], v[142:143]
	v_add_f64_e32 v[83:84], v[104:105], v[162:163]
	v_add_f64_e64 v[69:70], v[138:139], -v[128:129]
	v_add_f64_e64 v[71:72], v[140:141], -v[130:131]
	;; [unrolled: 1-line block ×5, first 2 shown]
	v_add_f64_e32 v[98:99], v[120:121], v[150:151]
	v_add_f64_e32 v[104:105], v[124:125], v[152:153]
	;; [unrolled: 1-line block ×4, first 2 shown]
	v_add_f64_e64 v[102:103], v[120:121], -v[150:151]
	v_add_f64_e64 v[108:109], v[124:125], -v[152:153]
	;; [unrolled: 1-line block ×5, first 2 shown]
	v_add_co_u32 v89, s0, s4, v94
	v_add_f64_e32 v[96:97], v[106:107], v[146:147]
	v_add_f64_e64 v[100:101], v[106:107], -v[146:147]
	v_add_f64_e32 v[106:107], v[126:127], v[132:133]
	v_add_f64_e32 v[116:117], v[158:159], v[156:157]
	;; [unrolled: 1-line block ×3, first 2 shown]
	v_add_f64_e64 v[124:125], v[158:159], -v[156:157]
	v_add_f64_e64 v[126:127], v[160:161], -v[166:167]
	ds_store_b128 v235, v[0:3]
	ds_store_b128 v235, v[24:27] offset:16
	ds_store_b128 v235, v[32:35] offset:32
	;; [unrolled: 1-line block ×29, first 2 shown]
	v_and_b32_e32 v4, 0xff, v234
	v_dual_mov_b32 v66, v64 :: v_dual_add_nc_u32 v65, 5, v92
	v_dual_mov_b32 v68, v64 :: v_dual_add_nc_u32 v71, 25, v92
	s_delay_alu instid0(VALU_DEP_3) | instskip(NEXT) | instid1(VALU_DEP_3)
	v_mul_lo_u16 v6, 0xcd, v4
	v_lshlrev_b32_e32 v63, 2, v65
	s_wait_alu 0xf1ff
	v_add_co_ci_u32_e64 v90, s0, s5, v95, s0
	v_and_b32_e32 v7, 0xff, v71
	v_lshrrev_b16 v6, 11, v6
	v_lshlrev_b64_e32 v[4:5], 4, v[63:64]
	global_wb scope:SCOPE_SE
	s_wait_dscnt 0x0
	s_barrier_signal -1
	v_mul_lo_u16 v7, 0xcd, v7
	v_mul_lo_u16 v6, v6, 10
	s_barrier_wait -1
	v_add_co_u32 v4, s0, s4, v4
	s_wait_alu 0xf1ff
	v_add_co_ci_u32_e64 v5, s0, s5, v5, s0
	v_sub_nc_u16 v6, v234, v6
	v_lshrrev_b16 v7, 11, v7
	global_inv scope:SCOPE_SE
	s_clause 0x2
	global_load_b128 v[0:3], v[89:90], off
	global_load_b128 v[48:51], v[89:90], off offset:16
	global_load_b128 v[40:43], v[89:90], off offset:32
	v_and_b32_e32 v69, 0xff, v6
	s_clause 0x2
	global_load_b128 v[32:35], v[4:5], off
	global_load_b128 v[28:31], v[4:5], off offset:16
	global_load_b128 v[16:19], v[4:5], off offset:32
	v_mul_lo_u16 v8, v7, 10
	v_lshlrev_b32_e32 v9, 6, v69
	global_load_b128 v[36:39], v[89:90], off offset:48
	v_lshlrev_b32_e32 v65, 1, v65
	v_sub_nc_u16 v8, v71, v8
	s_clause 0x3
	global_load_b128 v[24:27], v9, s[4:5]
	global_load_b128 v[4:7], v[4:5], off offset:48
	global_load_b128 v[20:23], v9, s[4:5] offset:16
	global_load_b128 v[12:15], v9, s[4:5] offset:32
	v_lshlrev_b64_e32 v[65:66], 4, v[65:66]
	v_and_b32_e32 v70, 0xff, v8
	s_delay_alu instid0(VALU_DEP_1)
	v_lshlrev_b32_e32 v60, 6, v70
	s_clause 0x4
	global_load_b128 v[8:11], v9, s[4:5] offset:48
	global_load_b128 v[44:47], v60, s[4:5]
	global_load_b128 v[52:55], v60, s[4:5] offset:16
	global_load_b128 v[56:59], v60, s[4:5] offset:32
	;; [unrolled: 1-line block ×3, first 2 shown]
	ds_load_b128 v[72:75], v93 offset:480
	ds_load_b128 v[76:79], v93 offset:640
	ds_load_b128 v[80:83], v93 offset:560
	ds_load_b128 v[84:87], v93 offset:720
	ds_load_b128 v[88:91], v93 offset:960
	ds_load_b128 v[96:99], v93 offset:1040
	ds_load_b128 v[100:103], v93 offset:1120
	ds_load_b128 v[104:107], v93 offset:1200
	ds_load_b128 v[108:111], v93 offset:1440
	ds_load_b128 v[112:115], v93 offset:1520
	ds_load_b128 v[116:119], v93 offset:1600
	ds_load_b128 v[120:123], v93 offset:1680
	ds_load_b128 v[124:127], v93 offset:1920
	ds_load_b128 v[128:131], v93 offset:2000
	ds_load_b128 v[132:135], v93 offset:2080
	ds_load_b128 v[136:139], v93 offset:2160
	ds_load_b128 v[140:143], v93 offset:800
	ds_load_b128 v[144:147], v93 offset:880
	ds_load_b128 v[148:151], v93 offset:1280
	ds_load_b128 v[152:155], v93 offset:1360
	ds_load_b128 v[156:159], v93 offset:1760
	ds_load_b128 v[160:163], v93 offset:1840
	ds_load_b128 v[164:167], v93 offset:2240
	ds_load_b128 v[168:171], v93 offset:2320
	v_add_co_u32 v65, s0, s4, v65
	s_wait_alu 0xf1ff
	v_add_co_ci_u32_e64 v66, s0, s5, v66, s0
	s_wait_loadcnt_dscnt 0xf16
	v_mul_f64_e32 v[174:175], v[78:79], v[2:3]
	s_wait_loadcnt_dscnt 0xe13
	v_mul_f64_e32 v[176:177], v[90:91], v[50:51]
	v_mul_f64_e32 v[178:179], v[88:89], v[50:51]
	s_wait_dscnt 0x11
	v_mul_f64_e32 v[180:181], v[102:103], v[50:51]
	v_mul_f64_e32 v[50:51], v[100:101], v[50:51]
	s_wait_loadcnt_dscnt 0xd0f
	v_mul_f64_e32 v[182:183], v[110:111], v[42:43]
	v_mul_f64_e32 v[184:185], v[108:109], v[42:43]
	s_wait_dscnt 0xd
	v_mul_f64_e32 v[186:187], v[118:119], v[42:43]
	v_mul_f64_e32 v[42:43], v[116:117], v[42:43]
	s_wait_loadcnt 0xc
	v_mul_f64_e32 v[194:195], v[82:83], v[34:35]
	v_mul_f64_e32 v[196:197], v[80:81], v[34:35]
	s_wait_loadcnt 0xb
	v_mul_f64_e32 v[202:203], v[98:99], v[30:31]
	v_mul_f64_e32 v[204:205], v[96:97], v[30:31]
	;; [unrolled: 1-line block ×4, first 2 shown]
	s_wait_loadcnt 0xa
	v_mul_f64_e32 v[210:211], v[114:115], v[18:19]
	v_mul_f64_e32 v[212:213], v[112:113], v[18:19]
	s_wait_dscnt 0xc
	v_mul_f64_e32 v[214:215], v[122:123], v[18:19]
	v_mul_f64_e32 v[18:19], v[120:121], v[18:19]
	s_wait_loadcnt_dscnt 0x70a
	v_mul_f64_e32 v[216:217], v[130:131], v[6:7]
	v_mul_f64_e32 v[218:219], v[128:129], v[6:7]
	;; [unrolled: 1-line block ×7, first 2 shown]
	s_wait_dscnt 0x9
	v_mul_f64_e32 v[192:193], v[134:135], v[38:39]
	v_mul_f64_e32 v[38:39], v[132:133], v[38:39]
	;; [unrolled: 1-line block ×4, first 2 shown]
	s_wait_dscnt 0x8
	v_mul_f64_e32 v[220:221], v[138:139], v[6:7]
	v_mul_f64_e32 v[6:7], v[136:137], v[6:7]
	s_wait_dscnt 0x7
	v_mul_f64_e32 v[222:223], v[142:143], v[26:27]
	v_mul_f64_e32 v[26:27], v[140:141], v[26:27]
	s_wait_loadcnt_dscnt 0x503
	v_mul_f64_e32 v[224:225], v[158:159], v[14:15]
	v_mul_f64_e32 v[14:15], v[156:157], v[14:15]
	v_fma_f64 v[76:77], v[76:77], v[0:1], v[174:175]
	v_mul_f64_e32 v[174:175], v[150:151], v[22:23]
	v_mul_f64_e32 v[22:23], v[148:149], v[22:23]
	v_fma_f64 v[88:89], v[88:89], v[48:49], v[176:177]
	v_fma_f64 v[90:91], v[90:91], v[48:49], -v[178:179]
	s_wait_loadcnt_dscnt 0x401
	v_mul_f64_e32 v[176:177], v[166:167], v[10:11]
	v_fma_f64 v[100:101], v[100:101], v[48:49], v[180:181]
	v_fma_f64 v[50:51], v[102:103], v[48:49], -v[50:51]
	v_mul_f64_e32 v[10:11], v[164:165], v[10:11]
	s_wait_loadcnt 0x3
	v_mul_f64_e32 v[102:103], v[146:147], v[46:47]
	v_mul_f64_e32 v[178:179], v[144:145], v[46:47]
	s_wait_loadcnt 0x2
	v_mul_f64_e32 v[180:181], v[154:155], v[54:55]
	v_fma_f64 v[108:109], v[108:109], v[40:41], v[182:183]
	v_mul_f64_e32 v[54:55], v[152:153], v[54:55]
	s_wait_loadcnt 0x1
	v_mul_f64_e32 v[182:183], v[162:163], v[58:59]
	v_fma_f64 v[42:43], v[118:119], v[40:41], -v[42:43]
	v_mul_f64_e32 v[58:59], v[160:161], v[58:59]
	s_wait_loadcnt_dscnt 0x0
	v_mul_f64_e32 v[118:119], v[170:171], v[62:63]
	v_mul_f64_e32 v[62:63], v[168:169], v[62:63]
	v_fma_f64 v[80:81], v[80:81], v[32:33], v[194:195]
	v_fma_f64 v[82:83], v[82:83], v[32:33], -v[196:197]
	v_fma_f64 v[96:97], v[96:97], v[28:29], v[202:203]
	v_fma_f64 v[98:99], v[98:99], v[28:29], -v[204:205]
	;; [unrolled: 2-line block ×3, first 2 shown]
	v_fma_f64 v[106:107], v[112:113], v[16:17], v[210:211]
	v_fma_f64 v[112:113], v[128:129], v[4:5], v[216:217]
	v_fma_f64 v[114:115], v[114:115], v[16:17], -v[212:213]
	v_fma_f64 v[120:121], v[120:121], v[16:17], v[214:215]
	v_fma_f64 v[16:17], v[122:123], v[16:17], -v[18:19]
	v_fma_f64 v[18:19], v[130:131], v[4:5], -v[218:219]
	v_fma_f64 v[94:95], v[72:73], v[0:1], v[94:95]
	v_fma_f64 v[172:173], v[74:75], v[0:1], -v[172:173]
	;; [unrolled: 3-line block ×3, first 2 shown]
	v_fma_f64 v[132:133], v[132:133], v[36:37], v[192:193]
	v_fma_f64 v[134:135], v[134:135], v[36:37], -v[38:39]
	ds_load_b128 v[0:3], v237
	ds_load_b128 v[34:37], v93 offset:80
	v_fma_f64 v[116:117], v[116:117], v[40:41], v[186:187]
	v_fma_f64 v[84:85], v[84:85], v[32:33], v[198:199]
	v_fma_f64 v[86:87], v[86:87], v[32:33], -v[200:201]
	v_fma_f64 v[122:123], v[136:137], v[4:5], v[220:221]
	v_fma_f64 v[128:129], v[138:139], v[4:5], -v[6:7]
	;; [unrolled: 2-line block ×9, first 2 shown]
	v_fma_f64 v[58:59], v[170:171], v[60:61], -v[62:63]
	v_fma_f64 v[110:111], v[110:111], v[40:41], -v[184:185]
	s_wait_dscnt 0x0
	v_add_f64_e32 v[182:183], v[34:35], v[80:81]
	v_add_f64_e32 v[184:185], v[36:37], v[82:83]
	v_fma_f64 v[56:57], v[168:169], v[60:61], v[118:119]
	v_add_f64_e32 v[160:161], v[96:97], v[106:107]
	v_add_f64_e32 v[164:165], v[80:81], v[112:113]
	;; [unrolled: 1-line block ×3, first 2 shown]
	ds_load_b128 v[38:41], v93 offset:160
	ds_load_b128 v[46:49], v93 offset:240
	v_add_f64_e32 v[176:177], v[50:51], v[42:43]
	v_add_f64_e32 v[166:167], v[82:83], v[18:19]
	;; [unrolled: 1-line block ×4, first 2 shown]
	v_add_f64_e64 v[60:61], v[94:95], -v[88:89]
	v_add_f64_e64 v[62:63], v[124:125], -v[108:109]
	v_add_f64_e32 v[186:187], v[104:105], v[120:121]
	v_add_f64_e32 v[178:179], v[76:77], v[132:133]
	;; [unrolled: 1-line block ×10, first 2 shown]
	v_add_f64_e64 v[148:149], v[88:89], -v[94:95]
	v_add_f64_e64 v[152:153], v[108:109], -v[124:125]
	s_wait_dscnt 0x1
	v_add_f64_e32 v[226:227], v[38:39], v[76:77]
	v_add_f64_e32 v[228:229], v[40:41], v[78:79]
	v_add_f64_e64 v[156:157], v[80:81], -v[96:97]
	v_add_f64_e64 v[158:159], v[112:113], -v[106:107]
	v_add_f64_e32 v[200:201], v[20:21], v[12:13]
	v_add_f64_e32 v[204:205], v[6:7], v[130:131]
	ds_load_b128 v[30:33], v93 offset:320
	ds_load_b128 v[72:75], v93 offset:400
	v_add_f64_e64 v[102:103], v[172:173], -v[90:91]
	v_add_f64_e64 v[150:151], v[90:91], -v[172:173]
	v_add_f64_e32 v[210:211], v[14:15], v[52:53]
	v_add_f64_e32 v[212:213], v[44:45], v[54:55]
	;; [unrolled: 1-line block ×7, first 2 shown]
	v_fma_f64 v[160:161], v[160:161], -0.5, v[34:35]
	v_fma_f64 v[34:35], v[164:165], -0.5, v[34:35]
	;; [unrolled: 1-line block ×3, first 2 shown]
	s_wait_dscnt 0x2
	v_add_f64_e32 v[164:165], v[46:47], v[84:85]
	v_add_f64_e64 v[118:119], v[126:127], -v[110:111]
	v_fma_f64 v[36:37], v[166:167], -0.5, v[36:37]
	v_add_f64_e32 v[166:167], v[48:49], v[86:87]
	v_add_f64_e32 v[144:145], v[144:145], v[88:89]
	;; [unrolled: 1-line block ×3, first 2 shown]
	v_add_f64_e64 v[154:155], v[110:111], -v[126:127]
	v_add_f64_e64 v[168:169], v[82:83], -v[98:99]
	;; [unrolled: 1-line block ×5, first 2 shown]
	v_add_f64_e32 v[198:199], v[24:25], v[22:23]
	v_add_f64_e32 v[202:203], v[4:5], v[26:27]
	v_fma_f64 v[174:175], v[174:175], -0.5, v[38:39]
	v_fma_f64 v[38:39], v[178:179], -0.5, v[38:39]
	s_wait_dscnt 0x1
	v_add_f64_e32 v[178:179], v[30:31], v[4:5]
	v_fma_f64 v[176:177], v[176:177], -0.5, v[40:41]
	v_fma_f64 v[40:41], v[180:181], -0.5, v[40:41]
	v_add_f64_e32 v[180:181], v[32:33], v[6:7]
	v_add_f64_e32 v[226:227], v[226:227], v[100:101]
	;; [unrolled: 1-line block ×3, first 2 shown]
	v_fma_f64 v[186:187], v[186:187], -0.5, v[46:47]
	v_fma_f64 v[188:189], v[188:189], -0.5, v[48:49]
	;; [unrolled: 1-line block ×4, first 2 shown]
	s_wait_dscnt 0x0
	v_add_f64_e32 v[190:191], v[72:73], v[8:9]
	v_add_f64_e32 v[192:193], v[74:75], v[10:11]
	;; [unrolled: 1-line block ×3, first 2 shown]
	v_add_f64_e64 v[62:63], v[128:129], -v[16:17]
	v_fma_f64 v[212:213], v[212:213], -0.5, v[74:75]
	v_fma_f64 v[74:75], v[216:217], -0.5, v[74:75]
	v_add_f64_e64 v[216:217], v[86:87], -v[28:29]
	v_fma_f64 v[136:137], v[136:137], -0.5, v[0:1]
	v_fma_f64 v[138:139], v[138:139], -0.5, v[2:3]
	v_add_f64_e64 v[172:173], v[172:173], -v[126:127]
	v_add_f64_e64 v[94:95], v[94:95], -v[124:125]
	;; [unrolled: 1-line block ×4, first 2 shown]
	v_add_f64_e32 v[164:165], v[164:165], v[104:105]
	v_add_f64_e64 v[222:223], v[78:79], -v[50:51]
	v_add_f64_e64 v[224:225], v[134:135], -v[42:43]
	v_add_f64_e32 v[166:167], v[166:167], v[28:29]
	v_add_f64_e64 v[230:231], v[100:101], -v[76:77]
	v_fma_f64 v[0:1], v[140:141], -0.5, v[0:1]
	v_fma_f64 v[2:3], v[142:143], -0.5, v[2:3]
	v_add_f64_e64 v[142:143], v[116:117], -v[132:133]
	v_add_f64_e64 v[88:89], v[88:89], -v[108:109]
	v_add_f64_e32 v[108:109], v[144:145], v[108:109]
	v_add_f64_e64 v[144:145], v[14:15], -v[8:9]
	v_add_f64_e64 v[90:91], v[90:91], -v[110:111]
	v_add_f64_e32 v[110:111], v[146:147], v[110:111]
	v_add_f64_e64 v[146:147], v[52:53], -v[56:57]
	v_add_f64_e64 v[96:97], v[96:97], -v[106:107]
	;; [unrolled: 1-line block ×3, first 2 shown]
	v_add_f64_e32 v[106:107], v[182:183], v[106:107]
	v_add_f64_e64 v[182:183], v[44:45], -v[10:11]
	v_add_f64_e32 v[114:115], v[184:185], v[114:115]
	v_add_f64_e64 v[184:185], v[54:55], -v[58:59]
	v_add_f64_e64 v[82:83], v[82:83], -v[18:19]
	;; [unrolled: 1-line block ×3, first 2 shown]
	v_add_f64_e32 v[148:149], v[148:149], v[152:153]
	v_add_f64_e64 v[152:153], v[28:29], -v[86:87]
	v_add_f64_e32 v[156:157], v[156:157], v[158:159]
	v_add_f64_e64 v[158:159], v[16:17], -v[128:129]
	v_fma_f64 v[200:201], v[200:201], -0.5, v[32:33]
	v_fma_f64 v[32:33], v[204:205], -0.5, v[32:33]
	v_add_f64_e64 v[204:205], v[84:85], -v[104:105]
	v_fma_f64 v[210:211], v[210:211], -0.5, v[72:73]
	v_fma_f64 v[72:73], v[214:215], -0.5, v[72:73]
	v_add_f64_e64 v[214:215], v[122:123], -v[120:121]
	v_add_f64_e64 v[218:219], v[76:77], -v[100:101]
	;; [unrolled: 1-line block ×4, first 2 shown]
	v_add_f64_e32 v[102:103], v[102:103], v[118:119]
	v_add_f64_e64 v[118:119], v[104:105], -v[84:85]
	v_add_f64_e32 v[150:151], v[150:151], v[154:155]
	v_add_f64_e64 v[154:155], v[120:121], -v[122:123]
	;; [unrolled: 2-line block ×4, first 2 shown]
	v_add_f64_e64 v[78:79], v[78:79], -v[134:135]
	v_add_f64_e64 v[76:77], v[76:77], -v[132:133]
	v_fma_f64 v[198:199], v[198:199], -0.5, v[30:31]
	v_fma_f64 v[30:31], v[202:203], -0.5, v[30:31]
	v_add_f64_e64 v[202:203], v[42:43], -v[134:135]
	v_add_f64_e64 v[100:101], v[100:101], -v[116:117]
	v_add_f64_e32 v[116:117], v[226:227], v[116:117]
	v_mov_b32_e32 v227, v64
	v_add_f64_e64 v[50:51], v[50:51], -v[42:43]
	v_add_f64_e32 v[42:43], v[228:229], v[42:43]
	v_add_f64_e32 v[178:179], v[178:179], v[24:25]
	v_add_f64_e64 v[86:87], v[86:87], -v[128:129]
	v_add_f64_e64 v[84:85], v[84:85], -v[122:123]
	v_add_f64_e32 v[216:217], v[216:217], v[62:63]
	v_add_f64_e64 v[62:63], v[8:9], -v[14:15]
	v_add_f64_e64 v[104:105], v[104:105], -v[120:121]
	v_add_f64_e64 v[28:29], v[28:29], -v[16:17]
	v_add_f64_e32 v[180:181], v[180:181], v[20:21]
	v_add_f64_e32 v[190:191], v[190:191], v[14:15]
	v_add_f64_e64 v[247:248], v[14:15], -v[52:53]
	v_add_f64_e32 v[14:15], v[164:165], v[120:121]
	v_add_f64_e32 v[16:17], v[166:167], v[16:17]
	v_add_f64_e64 v[239:240], v[6:7], -v[130:131]
	v_add_f64_e64 v[241:242], v[4:5], -v[26:27]
	v_fma_f64 v[120:121], v[172:173], s[12:13], v[136:137]
	v_fma_f64 v[136:137], v[172:173], s[14:15], v[136:137]
	;; [unrolled: 1-line block ×4, first 2 shown]
	v_add_f64_e32 v[196:197], v[196:197], v[208:209]
	v_add_f64_e64 v[208:209], v[6:7], -v[20:21]
	v_add_f64_e32 v[222:223], v[222:223], v[224:225]
	v_add_f64_e64 v[224:225], v[24:25], -v[4:5]
	;; [unrolled: 2-line block ×3, first 2 shown]
	v_add_f64_e64 v[20:21], v[20:21], -v[12:13]
	v_add_f64_e64 v[24:25], v[24:25], -v[22:23]
	v_add_f64_e32 v[144:145], v[144:145], v[146:147]
	v_add_f64_e32 v[146:147], v[182:183], v[184:185]
	v_fma_f64 v[166:167], v[90:91], s[14:15], v[0:1]
	v_fma_f64 v[182:183], v[90:91], s[12:13], v[0:1]
	v_add_f64_e64 v[243:244], v[10:11], -v[58:59]
	v_add_f64_e64 v[245:246], v[8:9], -v[56:57]
	v_fma_f64 v[184:185], v[88:89], s[12:13], v[2:3]
	v_fma_f64 v[249:250], v[88:89], s[14:15], v[2:3]
	v_add_f64_e32 v[0:1], v[108:109], v[124:125]
	v_add_f64_e32 v[2:3], v[110:111], v[126:127]
	v_fma_f64 v[108:109], v[82:83], s[12:13], v[160:161]
	v_fma_f64 v[110:111], v[80:81], s[14:15], v[162:163]
	;; [unrolled: 1-line block ×4, first 2 shown]
	v_add_f64_e32 v[152:153], v[152:153], v[158:159]
	v_add_f64_e64 v[158:159], v[10:11], -v[44:45]
	v_add_f64_e32 v[192:193], v[192:193], v[44:45]
	v_add_f64_e64 v[44:45], v[44:45], -v[54:55]
	v_add_f64_e32 v[4:5], v[106:107], v[112:113]
	v_add_f64_e32 v[6:7], v[114:115], v[18:19]
	v_fma_f64 v[18:19], v[98:99], s[14:15], v[34:35]
	v_fma_f64 v[34:35], v[98:99], s[12:13], v[34:35]
	v_fma_f64 v[106:107], v[96:97], s[12:13], v[36:37]
	v_fma_f64 v[36:37], v[96:97], s[14:15], v[36:37]
	v_add_f64_e32 v[204:205], v[204:205], v[214:215]
	v_add_f64_e64 v[214:215], v[12:13], -v[130:131]
	v_add_f64_e32 v[218:219], v[218:219], v[220:221]
	v_add_f64_e64 v[220:221], v[130:131], -v[12:13]
	;; [unrolled: 2-line block ×4, first 2 shown]
	v_fma_f64 v[112:113], v[78:79], s[12:13], v[174:175]
	v_fma_f64 v[160:161], v[76:77], s[14:15], v[176:177]
	v_add_f64_e32 v[140:141], v[140:141], v[202:203]
	v_add_f64_e64 v[202:203], v[22:23], -v[26:27]
	v_add_f64_e32 v[22:23], v[178:179], v[22:23]
	v_fma_f64 v[162:163], v[78:79], s[14:15], v[174:175]
	v_fma_f64 v[174:175], v[76:77], s[12:13], v[176:177]
	;; [unrolled: 1-line block ×3, first 2 shown]
	v_add_f64_e32 v[8:9], v[116:117], v[132:133]
	v_add_f64_e32 v[10:11], v[42:43], v[134:135]
	v_fma_f64 v[42:43], v[86:87], s[12:13], v[186:187]
	v_fma_f64 v[116:117], v[84:85], s[14:15], v[188:189]
	;; [unrolled: 1-line block ×3, first 2 shown]
	v_add_f64_e32 v[114:115], v[180:181], v[12:13]
	v_fma_f64 v[134:135], v[84:85], s[12:13], v[188:189]
	v_add_f64_e32 v[12:13], v[14:15], v[122:123]
	v_add_f64_e32 v[14:15], v[16:17], v[128:129]
	v_fma_f64 v[16:17], v[28:29], s[14:15], v[46:47]
	v_fma_f64 v[122:123], v[104:105], s[12:13], v[48:49]
	;; [unrolled: 1-line block ×27, first 2 shown]
	v_add_f64_e32 v[54:55], v[192:193], v[54:55]
	v_fma_f64 v[192:193], v[82:83], s[6:7], v[18:19]
	v_fma_f64 v[82:83], v[82:83], s[10:11], v[34:35]
	;; [unrolled: 1-line block ×6, first 2 shown]
	v_add_f64_e32 v[214:215], v[230:231], v[214:215]
	v_lshlrev_b32_e32 v230, 1, v71
	v_fma_f64 v[71:72], v[44:45], s[12:13], v[72:73]
	v_fma_f64 v[73:74], v[247:248], s[14:15], v[74:75]
	v_add_f64_e32 v[52:53], v[190:191], v[52:53]
	v_fma_f64 v[188:189], v[243:244], s[14:15], v[210:211]
	v_fma_f64 v[190:191], v[245:246], s[12:13], v[212:213]
	;; [unrolled: 1-line block ×3, first 2 shown]
	v_mov_b32_e32 v231, v64
	v_fma_f64 v[94:95], v[94:95], s[6:7], v[249:250]
	v_add_f64_e32 v[208:209], v[208:209], v[220:221]
	v_mov_b32_e32 v221, v64
	v_lshlrev_b32_e32 v67, 1, v234
	v_add_f64_e32 v[154:155], v[62:63], v[154:155]
	v_add_f64_e32 v[158:159], v[158:159], v[206:207]
	v_mov_b32_e32 v207, v64
	v_lshlrev_b64_e32 v[233:234], 4, v[230:231]
	v_lshlrev_b32_e32 v62, 4, v69
	v_lshlrev_b32_e32 v230, 4, v70
	v_fma_f64 v[69:70], v[50:51], s[6:7], v[112:113]
	v_fma_f64 v[160:161], v[100:101], s[10:11], v[160:161]
	;; [unrolled: 1-line block ×18, first 2 shown]
	v_add_f64_e32 v[202:203], v[224:225], v[202:203]
	v_add_f64_e32 v[18:19], v[114:115], v[130:131]
	v_fma_f64 v[114:115], v[239:240], s[6:7], v[182:183]
	v_fma_f64 v[182:183], v[241:242], s[10:11], v[186:187]
	;; [unrolled: 1-line block ×14, first 2 shown]
	v_add_f64_e32 v[16:17], v[22:23], v[26:27]
	v_fma_f64 v[24:25], v[60:61], s[2:3], v[120:121]
	v_fma_f64 v[26:27], v[102:103], s[2:3], v[136:137]
	;; [unrolled: 1-line block ×10, first 2 shown]
	v_add_f64_e32 v[20:21], v[52:53], v[56:57]
	v_add_f64_e32 v[22:23], v[54:55], v[58:59]
	v_fma_f64 v[52:53], v[194:195], s[2:3], v[82:83]
	v_fma_f64 v[54:55], v[196:197], s[2:3], v[80:81]
	;; [unrolled: 1-line block ×28, first 2 shown]
	v_lshlrev_b32_e32 v63, 1, v92
	v_fma_f64 v[108:109], v[170:171], s[2:3], v[164:165]
	v_fma_f64 v[110:111], v[208:209], s[2:3], v[180:181]
	v_lshlrev_b64_e32 v[67:68], 4, v[67:68]
	v_fma_f64 v[120:121], v[154:155], s[2:3], v[124:125]
	v_fma_f64 v[122:123], v[158:159], s[2:3], v[126:127]
	;; [unrolled: 1-line block ×6, first 2 shown]
	v_lshlrev_b64_e32 v[228:229], 4, v[63:64]
	v_fma_f64 v[124:125], v[154:155], s[2:3], v[188:189]
	v_fma_f64 v[126:127], v[158:159], s[2:3], v[190:191]
	v_add_co_u32 v67, s0, s4, v67
	v_add_nc_u32_e32 v220, 20, v63
	s_wait_alu 0xf1ff
	v_add_co_ci_u32_e64 v68, s0, s5, v68, s0
	v_add_co_u32 v60, s0, s4, v228
	s_wait_alu 0xf1ff
	v_add_co_ci_u32_e64 v61, s0, s5, v229, s0
	v_add3_u32 v62, 0, v62, v238
	v_add3_u32 v89, 0, v230, v238
	global_wb scope:SCOPE_SE
	s_barrier_signal -1
	s_barrier_wait -1
	global_inv scope:SCOPE_SE
	ds_store_b128 v93, v[0:3]
	ds_store_b128 v93, v[4:7] offset:80
	ds_store_b128 v93, v[8:11] offset:800
	ds_store_b128 v93, v[12:15] offset:880
	ds_store_b128 v93, v[24:27] offset:160
	ds_store_b128 v93, v[40:43] offset:240
	ds_store_b128 v93, v[32:35] offset:320
	ds_store_b128 v93, v[48:51] offset:400
	ds_store_b128 v93, v[36:39] offset:480
	ds_store_b128 v93, v[52:55] offset:560
	ds_store_b128 v93, v[28:31] offset:640
	ds_store_b128 v93, v[44:47] offset:720
	ds_store_b128 v93, v[56:59] offset:960
	ds_store_b128 v93, v[81:84] offset:1040
	ds_store_b128 v93, v[73:76] offset:1120
	ds_store_b128 v93, v[96:99] offset:1200
	ds_store_b128 v93, v[77:80] offset:1280
	ds_store_b128 v93, v[100:103] offset:1360
	ds_store_b128 v93, v[69:72] offset:1440
	ds_store_b128 v93, v[85:88] offset:1520
	ds_store_b128 v62, v[16:19] offset:1600
	ds_store_b128 v62, v[104:107] offset:1760
	ds_store_b128 v62, v[112:115] offset:1920
	ds_store_b128 v62, v[116:119] offset:2080
	ds_store_b128 v62, v[108:111] offset:2240
	ds_store_b128 v89, v[20:23] offset:1600
	ds_store_b128 v89, v[120:123] offset:1760
	ds_store_b128 v89, v[128:131] offset:1920
	ds_store_b128 v89, v[132:135] offset:2080
	ds_store_b128 v89, v[124:127] offset:2240
	v_lshlrev_b64_e32 v[8:9], 4, v[220:221]
	v_add_co_u32 v44, s0, s4, v233
	global_wb scope:SCOPE_SE
	s_wait_dscnt 0x0
	s_barrier_signal -1
	s_barrier_wait -1
	global_inv scope:SCOPE_SE
	s_clause 0x1
	global_load_b128 v[0:3], v[60:61], off offset:640
	global_load_b128 v[4:7], v[60:61], off offset:656
	s_wait_alu 0xf1ff
	v_add_co_ci_u32_e64 v45, s0, s5, v234, s0
	v_add_co_u32 v20, s0, s4, v8
	s_wait_alu 0xf1ff
	v_add_co_ci_u32_e64 v21, s0, s5, v9, s0
	global_load_b128 v[8:11], v[65:66], off offset:640
	v_dual_mov_b32 v225, v64 :: v_dual_add_nc_u32 v224, 30, v63
	v_add_nc_u32_e32 v231, 60, v63
	v_add_nc_u32_e32 v206, 0x46, v63
	v_or_b32_e32 v226, 0x50, v63
	v_add_nc_u32_e32 v63, 0x5a, v63
	v_lshlrev_b64_e32 v[12:13], 4, v[224:225]
	v_lshlrev_b64_e32 v[28:29], 4, v[231:232]
	;; [unrolled: 1-line block ×5, first 2 shown]
	s_mov_b32 s3, 0x3febb67a
	v_add_co_u32 v30, s0, s4, v12
	s_wait_alu 0xf1ff
	v_add_co_ci_u32_e64 v31, s0, s5, v13, s0
	v_add_co_u32 v52, s0, s4, v28
	s_clause 0x3
	global_load_b128 v[12:15], v[65:66], off offset:656
	global_load_b128 v[16:19], v[20:21], off offset:640
	;; [unrolled: 1-line block ×4, first 2 shown]
	s_wait_alu 0xf1ff
	v_add_co_ci_u32_e64 v53, s0, s5, v29, s0
	v_add_co_u32 v60, s0, s4, v46
	s_wait_alu 0xf1ff
	v_add_co_ci_u32_e64 v61, s0, s5, v47, s0
	s_clause 0x3
	global_load_b128 v[28:31], v[30:31], off offset:656
	global_load_b128 v[32:35], v[67:68], off offset:640
	;; [unrolled: 1-line block ×4, first 2 shown]
	v_add_co_u32 v69, s0, s4, v56
	s_wait_alu 0xf1ff
	v_add_co_ci_u32_e64 v70, s0, s5, v57, s0
	s_clause 0x2
	global_load_b128 v[44:47], v[44:45], off offset:656
	global_load_b128 v[48:51], v[52:53], off offset:640
	;; [unrolled: 1-line block ×3, first 2 shown]
	v_add_co_u32 v77, s0, s4, v71
	s_wait_alu 0xf1ff
	v_add_co_ci_u32_e64 v78, s0, s5, v72, s0
	s_clause 0x5
	global_load_b128 v[56:59], v[60:61], off offset:640
	global_load_b128 v[60:63], v[60:61], off offset:656
	;; [unrolled: 1-line block ×6, first 2 shown]
	ds_load_b128 v[81:84], v93 offset:800
	ds_load_b128 v[85:88], v93 offset:1600
	;; [unrolled: 1-line block ×20, first 2 shown]
	ds_load_b128 v[168:171], v237
	ds_load_b128 v[172:175], v93 offset:80
	ds_load_b128 v[176:179], v93 offset:160
	;; [unrolled: 1-line block ×3, first 2 shown]
	s_mov_b32 s0, 0xe8584caa
	s_mov_b32 s1, 0xbfebb67a
	s_wait_alu 0xfffe
	s_mov_b32 s2, s0
	s_wait_loadcnt_dscnt 0x1317
	v_mul_f64_e32 v[89:90], v[83:84], v[2:3]
	s_wait_loadcnt_dscnt 0x1216
	v_mul_f64_e32 v[94:95], v[87:88], v[6:7]
	v_mul_f64_e32 v[2:3], v[81:82], v[2:3]
	;; [unrolled: 1-line block ×3, first 2 shown]
	s_wait_loadcnt_dscnt 0x1115
	v_mul_f64_e32 v[184:185], v[98:99], v[10:11]
	v_mul_f64_e32 v[10:11], v[96:97], v[10:11]
	s_wait_loadcnt_dscnt 0x1014
	v_mul_f64_e32 v[186:187], v[102:103], v[14:15]
	v_mul_f64_e32 v[14:15], v[100:101], v[14:15]
	;; [unrolled: 3-line block ×4, first 2 shown]
	s_wait_loadcnt 0xd
	v_mul_f64_e32 v[192:193], v[110:111], v[26:27]
	v_mul_f64_e32 v[26:27], v[108:109], v[26:27]
	s_wait_loadcnt_dscnt 0xc10
	v_mul_f64_e32 v[194:195], v[118:119], v[30:31]
	v_mul_f64_e32 v[30:31], v[116:117], v[30:31]
	s_wait_loadcnt_dscnt 0xb0f
	;; [unrolled: 3-line block ×3, first 2 shown]
	v_mul_f64_e32 v[198:199], v[130:131], v[38:39]
	v_mul_f64_e32 v[38:39], v[128:129], v[38:39]
	s_wait_loadcnt 0x9
	v_mul_f64_e32 v[200:201], v[126:127], v[42:43]
	v_mul_f64_e32 v[42:43], v[124:125], v[42:43]
	s_wait_loadcnt_dscnt 0x80c
	v_mul_f64_e32 v[202:203], v[134:135], v[46:47]
	v_mul_f64_e32 v[46:47], v[132:133], v[46:47]
	s_wait_loadcnt_dscnt 0x70b
	;; [unrolled: 3-line block ×3, first 2 shown]
	v_mul_f64_e32 v[206:207], v[146:147], v[54:55]
	v_mul_f64_e32 v[54:55], v[144:145], v[54:55]
	v_fma_f64 v[81:82], v[81:82], v[0:1], v[89:90]
	s_wait_loadcnt 0x5
	v_mul_f64_e32 v[89:90], v[142:143], v[58:59]
	v_mul_f64_e32 v[58:59], v[140:141], v[58:59]
	s_wait_loadcnt_dscnt 0x408
	v_mul_f64_e32 v[208:209], v[150:151], v[62:63]
	v_mul_f64_e32 v[62:63], v[148:149], v[62:63]
	v_fma_f64 v[85:86], v[85:86], v[4:5], v[94:95]
	s_wait_loadcnt_dscnt 0x307
	v_mul_f64_e32 v[94:95], v[154:155], v[67:68]
	v_mul_f64_e32 v[67:68], v[152:153], v[67:68]
	s_wait_loadcnt_dscnt 0x205
	v_mul_f64_e32 v[210:211], v[162:163], v[71:72]
	v_mul_f64_e32 v[71:72], v[160:161], v[71:72]
	v_fma_f64 v[96:97], v[96:97], v[8:9], v[184:185]
	s_wait_loadcnt 0x1
	v_mul_f64_e32 v[184:185], v[158:159], v[75:76]
	v_mul_f64_e32 v[75:76], v[156:157], v[75:76]
	s_wait_loadcnt_dscnt 0x4
	v_mul_f64_e32 v[212:213], v[166:167], v[79:80]
	v_mul_f64_e32 v[79:80], v[164:165], v[79:80]
	v_fma_f64 v[83:84], v[83:84], v[0:1], -v[2:3]
	v_fma_f64 v[87:88], v[87:88], v[4:5], -v[6:7]
	;; [unrolled: 1-line block ×3, first 2 shown]
	v_fma_f64 v[100:101], v[100:101], v[12:13], v[186:187]
	v_fma_f64 v[102:103], v[102:103], v[12:13], -v[14:15]
	v_fma_f64 v[104:105], v[104:105], v[16:17], v[188:189]
	v_fma_f64 v[106:107], v[106:107], v[16:17], -v[18:19]
	;; [unrolled: 2-line block ×15, first 2 shown]
	ds_load_b128 v[0:3], v93 offset:320
	ds_load_b128 v[4:7], v93 offset:400
	v_fma_f64 v[62:63], v[156:157], v[73:74], v[184:185]
	v_fma_f64 v[65:66], v[158:159], v[73:74], -v[75:76]
	v_fma_f64 v[67:68], v[164:165], v[77:78], v[212:213]
	v_fma_f64 v[69:70], v[166:167], v[77:78], -v[79:80]
	ds_load_b128 v[8:11], v93 offset:480
	ds_load_b128 v[12:15], v93 offset:560
	;; [unrolled: 1-line block ×4, first 2 shown]
	v_add_f64_e32 v[71:72], v[81:82], v[85:86]
	v_add_f64_e32 v[73:74], v[83:84], v[87:88]
	s_wait_dscnt 0x9
	v_add_f64_e32 v[75:76], v[170:171], v[83:84]
	v_add_f64_e64 v[79:80], v[83:84], -v[87:88]
	v_add_f64_e32 v[83:84], v[96:97], v[100:101]
	v_add_f64_e32 v[89:90], v[98:99], v[102:103]
	;; [unrolled: 1-line block ×7, first 2 shown]
	s_wait_dscnt 0x8
	v_add_f64_e32 v[94:95], v[174:175], v[98:99]
	v_add_f64_e32 v[122:123], v[172:173], v[96:97]
	;; [unrolled: 1-line block ×4, first 2 shown]
	s_wait_dscnt 0x6
	v_add_f64_e32 v[138:139], v[180:181], v[108:109]
	v_add_f64_e32 v[128:129], v[178:179], v[106:107]
	;; [unrolled: 1-line block ×8, first 2 shown]
	s_wait_dscnt 0x5
	v_add_f64_e32 v[148:149], v[0:1], v[26:27]
	s_wait_dscnt 0x2
	v_add_f64_e32 v[198:199], v[14:15], v[48:49]
	v_add_f64_e32 v[194:195], v[38:39], v[50:51]
	;; [unrolled: 1-line block ×3, first 2 shown]
	v_add_f64_e64 v[202:203], v[48:49], -v[52:53]
	s_wait_dscnt 0x1
	v_add_f64_e32 v[208:209], v[18:19], v[56:57]
	v_add_f64_e32 v[48:49], v[54:55], v[58:59]
	v_add_f64_e32 v[206:207], v[56:57], v[60:61]
	v_add_f64_e32 v[210:211], v[16:17], v[54:55]
	v_add_f64_e64 v[212:213], v[56:57], -v[60:61]
	v_add_f64_e64 v[214:215], v[54:55], -v[58:59]
	v_add_f64_e32 v[54:55], v[62:63], v[67:68]
	v_add_f64_e32 v[56:57], v[65:66], v[69:70]
	;; [unrolled: 1-line block ×8, first 2 shown]
	s_wait_dscnt 0x0
	v_add_f64_e32 v[216:217], v[22:23], v[65:66]
	v_add_f64_e32 v[218:219], v[20:21], v[62:63]
	v_add_f64_e64 v[81:82], v[81:82], -v[85:86]
	v_add_f64_e64 v[220:221], v[65:66], -v[69:70]
	;; [unrolled: 1-line block ×3, first 2 shown]
	v_fma_f64 v[62:63], v[71:72], -0.5, v[168:169]
	v_fma_f64 v[65:66], v[73:74], -0.5, v[170:171]
	v_add_f64_e64 v[98:99], v[98:99], -v[102:103]
	v_add_f64_e64 v[96:97], v[96:97], -v[100:101]
	v_fma_f64 v[71:72], v[83:84], -0.5, v[172:173]
	v_fma_f64 v[73:74], v[89:90], -0.5, v[174:175]
	v_add_f64_e64 v[106:107], v[106:107], -v[114:115]
	v_add_f64_e64 v[104:105], v[104:105], -v[112:113]
	;; [unrolled: 1-line block ×4, first 2 shown]
	v_add_f64_e32 v[26:27], v[75:76], v[87:88]
	v_add_f64_e32 v[24:25], v[77:78], v[85:86]
	v_fma_f64 v[75:76], v[124:125], -0.5, v[176:177]
	v_fma_f64 v[77:78], v[126:127], -0.5, v[178:179]
	v_add_f64_e64 v[108:109], v[108:109], -v[110:111]
	v_fma_f64 v[83:84], v[132:133], -0.5, v[180:181]
	v_fma_f64 v[85:86], v[134:135], -0.5, v[182:183]
	v_add_f64_e64 v[150:151], v[28:29], -v[120:121]
	;; [unrolled: 3-line block ×3, first 2 shown]
	v_add_f64_e64 v[164:165], v[30:31], -v[40:41]
	v_add_f64_e32 v[30:31], v[94:95], v[102:103]
	v_add_f64_e32 v[28:29], v[122:123], v[100:101]
	v_fma_f64 v[94:95], v[154:155], -0.5, v[4:5]
	v_fma_f64 v[100:101], v[156:157], -0.5, v[6:7]
	v_add_f64_e64 v[190:191], v[36:37], -v[46:47]
	v_add_f64_e64 v[192:193], v[34:35], -v[44:45]
	v_add_f64_e32 v[36:37], v[138:139], v[110:111]
	v_fma_f64 v[102:103], v[166:167], -0.5, v[8:9]
	v_fma_f64 v[110:111], v[184:185], -0.5, v[10:11]
	v_add_f64_e64 v[204:205], v[38:39], -v[50:51]
	v_add_f64_e32 v[34:35], v[128:129], v[114:115]
	v_add_f64_e32 v[32:33], v[130:131], v[112:113]
	v_fma_f64 v[112:113], v[194:195], -0.5, v[12:13]
	v_fma_f64 v[114:115], v[196:197], -0.5, v[14:15]
	v_add_f64_e32 v[38:39], v[136:137], v[116:117]
	v_add_f64_e32 v[0:1], v[148:149], v[118:119]
	v_fma_f64 v[116:117], v[48:49], -0.5, v[16:17]
	v_fma_f64 v[118:119], v[206:207], -0.5, v[18:19]
	;; [unrolled: 1-line block ×4, first 2 shown]
	v_add_f64_e32 v[2:3], v[146:147], v[120:121]
	v_add_f64_e32 v[6:7], v[158:159], v[42:43]
	;; [unrolled: 1-line block ×11, first 2 shown]
	v_fma_f64 v[40:41], v[79:80], s[0:1], v[62:63]
	s_wait_alu 0xfffe
	v_fma_f64 v[42:43], v[81:82], s[2:3], v[65:66]
	v_fma_f64 v[48:49], v[98:99], s[0:1], v[71:72]
	;; [unrolled: 1-line block ×39, first 2 shown]
	global_wb scope:SCOPE_SE
	s_barrier_signal -1
	s_barrier_wait -1
	global_inv scope:SCOPE_SE
	ds_store_b128 v93, v[24:27]
	ds_store_b128 v93, v[28:31] offset:80
	ds_store_b128 v93, v[32:35] offset:160
	;; [unrolled: 1-line block ×29, first 2 shown]
	global_wb scope:SCOPE_SE
	s_wait_dscnt 0x0
	s_barrier_signal -1
	s_barrier_wait -1
	global_inv scope:SCOPE_SE
	s_and_saveexec_b32 s0, vcc_lo
	s_cbranch_execz .LBB0_18
; %bb.17:
	scratch_load_b64 v[2:3], off, off th:TH_LOAD_LU ; 8-byte Folded Reload
	v_mov_b32_e32 v93, v64
	v_lshl_add_u32 v34, v92, 4, v236
	v_add_nc_u32_e32 v63, 5, v92
	s_delay_alu instid0(VALU_DEP_3) | instskip(NEXT) | instid1(VALU_DEP_2)
	v_lshlrev_b64_e32 v[0:1], 4, v[92:93]
	v_lshlrev_b64_e32 v[16:17], 4, v[63:64]
	v_add_nc_u32_e32 v63, 10, v92
	s_delay_alu instid0(VALU_DEP_1) | instskip(SKIP_1) | instid1(VALU_DEP_1)
	v_lshlrev_b64_e32 v[20:21], 4, v[63:64]
	v_add_nc_u32_e32 v63, 15, v92
	v_lshlrev_b64_e32 v[22:23], 4, v[63:64]
	v_add_nc_u32_e32 v63, 20, v92
	s_delay_alu instid0(VALU_DEP_1)
	v_lshlrev_b64_e32 v[24:25], 4, v[63:64]
	v_add_nc_u32_e32 v63, 25, v92
	s_wait_loadcnt 0x0
	v_add_co_u32 v36, vcc_lo, s8, v2
	s_wait_alu 0xfffd
	v_add_co_ci_u32_e32 v37, vcc_lo, s9, v3, vcc_lo
	s_delay_alu instid0(VALU_DEP_2) | instskip(SKIP_1) | instid1(VALU_DEP_2)
	v_add_co_u32 v18, vcc_lo, v36, v0
	s_wait_alu 0xfffd
	v_add_co_ci_u32_e32 v19, vcc_lo, v37, v1, vcc_lo
	ds_load_b128 v[0:3], v34
	ds_load_b128 v[4:7], v34 offset:80
	ds_load_b128 v[8:11], v34 offset:160
	;; [unrolled: 1-line block ×3, first 2 shown]
	v_add_co_u32 v16, vcc_lo, v36, v16
	s_wait_alu 0xfffd
	v_add_co_ci_u32_e32 v17, vcc_lo, v37, v17, vcc_lo
	v_add_co_u32 v20, vcc_lo, v36, v20
	s_wait_alu 0xfffd
	v_add_co_ci_u32_e32 v21, vcc_lo, v37, v21, vcc_lo
	;; [unrolled: 3-line block ×3, first 2 shown]
	s_wait_dscnt 0x3
	global_store_b128 v[18:19], v[0:3], off
	s_wait_dscnt 0x2
	global_store_b128 v[16:17], v[4:7], off
	;; [unrolled: 2-line block ×4, first 2 shown]
	v_lshlrev_b64_e32 v[16:17], 4, v[63:64]
	v_add_nc_u32_e32 v63, 30, v92
	ds_load_b128 v[0:3], v34 offset:320
	ds_load_b128 v[4:7], v34 offset:400
	;; [unrolled: 1-line block ×4, first 2 shown]
	v_add_co_u32 v18, vcc_lo, v36, v24
	v_lshlrev_b64_e32 v[20:21], 4, v[63:64]
	v_add_nc_u32_e32 v63, 35, v92
	s_wait_alu 0xfffd
	v_add_co_ci_u32_e32 v19, vcc_lo, v37, v25, vcc_lo
	v_add_co_u32 v16, vcc_lo, v36, v16
	s_delay_alu instid0(VALU_DEP_3)
	v_lshlrev_b64_e32 v[22:23], 4, v[63:64]
	v_add_nc_u32_e32 v63, 40, v92
	s_wait_alu 0xfffd
	v_add_co_ci_u32_e32 v17, vcc_lo, v37, v17, vcc_lo
	v_add_co_u32 v20, vcc_lo, v36, v20
	s_wait_alu 0xfffd
	v_add_co_ci_u32_e32 v21, vcc_lo, v37, v21, vcc_lo
	v_add_co_u32 v22, vcc_lo, v36, v22
	v_lshlrev_b64_e32 v[24:25], 4, v[63:64]
	v_add_nc_u32_e32 v63, 45, v92
	s_wait_alu 0xfffd
	v_add_co_ci_u32_e32 v23, vcc_lo, v37, v23, vcc_lo
	s_wait_dscnt 0x3
	global_store_b128 v[18:19], v[0:3], off
	s_wait_dscnt 0x2
	global_store_b128 v[16:17], v[4:7], off
	s_wait_dscnt 0x1
	global_store_b128 v[20:21], v[8:11], off
	s_wait_dscnt 0x0
	global_store_b128 v[22:23], v[12:15], off
	ds_load_b128 v[0:3], v34 offset:640
	ds_load_b128 v[4:7], v34 offset:720
	v_lshlrev_b64_e32 v[16:17], 4, v[63:64]
	v_add_nc_u32_e32 v63, 50, v92
	ds_load_b128 v[8:11], v34 offset:800
	ds_load_b128 v[12:15], v34 offset:880
	v_add_co_u32 v18, vcc_lo, v36, v24
	s_wait_alu 0xfffd
	v_add_co_ci_u32_e32 v19, vcc_lo, v37, v25, vcc_lo
	v_lshlrev_b64_e32 v[20:21], 4, v[63:64]
	v_add_nc_u32_e32 v63, 55, v92
	v_add_co_u32 v16, vcc_lo, v36, v16
	s_wait_alu 0xfffd
	v_add_co_ci_u32_e32 v17, vcc_lo, v37, v17, vcc_lo
	s_delay_alu instid0(VALU_DEP_3) | instskip(SKIP_4) | instid1(VALU_DEP_4)
	v_lshlrev_b64_e32 v[22:23], 4, v[63:64]
	v_add_nc_u32_e32 v63, 60, v92
	v_add_co_u32 v20, vcc_lo, v36, v20
	s_wait_alu 0xfffd
	v_add_co_ci_u32_e32 v21, vcc_lo, v37, v21, vcc_lo
	v_add_co_u32 v22, vcc_lo, v36, v22
	v_lshlrev_b64_e32 v[24:25], 4, v[63:64]
	v_add_nc_u32_e32 v63, 0x41, v92
	s_wait_alu 0xfffd
	v_add_co_ci_u32_e32 v23, vcc_lo, v37, v23, vcc_lo
	s_wait_dscnt 0x3
	global_store_b128 v[18:19], v[0:3], off
	s_wait_dscnt 0x2
	global_store_b128 v[16:17], v[4:7], off
	s_wait_dscnt 0x1
	global_store_b128 v[20:21], v[8:11], off
	s_wait_dscnt 0x0
	global_store_b128 v[22:23], v[12:15], off
	ds_load_b128 v[0:3], v34 offset:960
	ds_load_b128 v[4:7], v34 offset:1040
	v_lshlrev_b64_e32 v[16:17], 4, v[63:64]
	v_add_nc_u32_e32 v63, 0x46, v92
	ds_load_b128 v[8:11], v34 offset:1120
	ds_load_b128 v[12:15], v34 offset:1200
	v_add_co_u32 v18, vcc_lo, v36, v24
	s_wait_alu 0xfffd
	v_add_co_ci_u32_e32 v19, vcc_lo, v37, v25, vcc_lo
	v_lshlrev_b64_e32 v[20:21], 4, v[63:64]
	v_add_nc_u32_e32 v63, 0x4b, v92
	v_add_co_u32 v16, vcc_lo, v36, v16
	s_wait_alu 0xfffd
	v_add_co_ci_u32_e32 v17, vcc_lo, v37, v17, vcc_lo
	s_delay_alu instid0(VALU_DEP_3) | instskip(SKIP_4) | instid1(VALU_DEP_4)
	v_lshlrev_b64_e32 v[22:23], 4, v[63:64]
	v_add_nc_u32_e32 v63, 0x50, v92
	;; [unrolled: 33-line block ×3, first 2 shown]
	v_add_co_u32 v20, vcc_lo, v36, v20
	s_wait_alu 0xfffd
	v_add_co_ci_u32_e32 v21, vcc_lo, v37, v21, vcc_lo
	v_add_co_u32 v22, vcc_lo, v36, v22
	v_lshlrev_b64_e32 v[24:25], 4, v[63:64]
	v_add_nc_u32_e32 v63, 0x69, v92
	s_wait_alu 0xfffd
	v_add_co_ci_u32_e32 v23, vcc_lo, v37, v23, vcc_lo
	s_wait_dscnt 0x3
	global_store_b128 v[18:19], v[0:3], off
	s_wait_dscnt 0x2
	global_store_b128 v[16:17], v[4:7], off
	;; [unrolled: 2-line block ×4, first 2 shown]
	ds_load_b128 v[0:3], v34 offset:1600
	ds_load_b128 v[4:7], v34 offset:1680
	v_lshlrev_b64_e32 v[16:17], 4, v[63:64]
	v_add_nc_u32_e32 v63, 0x6e, v92
	ds_load_b128 v[8:11], v34 offset:1760
	ds_load_b128 v[12:15], v34 offset:1840
	v_add_co_u32 v18, vcc_lo, v36, v24
	s_wait_alu 0xfffd
	v_add_co_ci_u32_e32 v19, vcc_lo, v37, v25, vcc_lo
	v_lshlrev_b64_e32 v[20:21], 4, v[63:64]
	v_add_nc_u32_e32 v63, 0x73, v92
	v_add_co_u32 v16, vcc_lo, v36, v16
	s_wait_alu 0xfffd
	v_add_co_ci_u32_e32 v17, vcc_lo, v37, v17, vcc_lo
	s_delay_alu instid0(VALU_DEP_3) | instskip(SKIP_4) | instid1(VALU_DEP_3)
	v_lshlrev_b64_e32 v[22:23], 4, v[63:64]
	v_add_nc_u32_e32 v63, 0x78, v92
	v_add_co_u32 v20, vcc_lo, v36, v20
	s_wait_alu 0xfffd
	v_add_co_ci_u32_e32 v21, vcc_lo, v37, v21, vcc_lo
	v_lshlrev_b64_e32 v[24:25], 4, v[63:64]
	v_add_nc_u32_e32 v63, 0x7d, v92
	v_add_co_u32 v22, vcc_lo, v36, v22
	s_wait_alu 0xfffd
	v_add_co_ci_u32_e32 v23, vcc_lo, v37, v23, vcc_lo
	s_wait_dscnt 0x3
	global_store_b128 v[18:19], v[0:3], off
	s_wait_dscnt 0x2
	global_store_b128 v[16:17], v[4:7], off
	;; [unrolled: 2-line block ×4, first 2 shown]
	v_lshlrev_b64_e32 v[8:9], 4, v[63:64]
	v_add_nc_u32_e32 v63, 0x82, v92
	v_add_co_u32 v24, vcc_lo, v36, v24
	s_wait_alu 0xfffd
	v_add_co_ci_u32_e32 v25, vcc_lo, v37, v25, vcc_lo
	s_delay_alu instid0(VALU_DEP_3) | instskip(SKIP_4) | instid1(VALU_DEP_4)
	v_lshlrev_b64_e32 v[10:11], 4, v[63:64]
	v_add_co_u32 v26, vcc_lo, v36, v8
	v_add_nc_u32_e32 v63, 0x87, v92
	s_wait_alu 0xfffd
	v_add_co_ci_u32_e32 v27, vcc_lo, v37, v9, vcc_lo
	v_add_co_u32 v30, vcc_lo, v36, v10
	ds_load_b128 v[0:3], v34 offset:1920
	ds_load_b128 v[4:7], v34 offset:2000
	s_wait_alu 0xfffd
	v_add_co_ci_u32_e32 v31, vcc_lo, v37, v11, vcc_lo
	ds_load_b128 v[8:11], v34 offset:2080
	ds_load_b128 v[12:15], v34 offset:2160
	;; [unrolled: 1-line block ×4, first 2 shown]
	v_lshlrev_b64_e32 v[28:29], 4, v[63:64]
	v_add_nc_u32_e32 v63, 0x8c, v92
	s_delay_alu instid0(VALU_DEP_1) | instskip(SKIP_1) | instid1(VALU_DEP_4)
	v_lshlrev_b64_e32 v[32:33], 4, v[63:64]
	v_add_nc_u32_e32 v63, 0x91, v92
	v_add_co_u32 v28, vcc_lo, v36, v28
	s_wait_alu 0xfffd
	v_add_co_ci_u32_e32 v29, vcc_lo, v37, v29, vcc_lo
	s_delay_alu instid0(VALU_DEP_3) | instskip(SKIP_3) | instid1(VALU_DEP_3)
	v_lshlrev_b64_e32 v[34:35], 4, v[63:64]
	v_add_co_u32 v32, vcc_lo, v36, v32
	s_wait_alu 0xfffd
	v_add_co_ci_u32_e32 v33, vcc_lo, v37, v33, vcc_lo
	v_add_co_u32 v34, vcc_lo, v36, v34
	s_wait_alu 0xfffd
	v_add_co_ci_u32_e32 v35, vcc_lo, v37, v35, vcc_lo
	s_wait_dscnt 0x5
	global_store_b128 v[24:25], v[0:3], off
	s_wait_dscnt 0x4
	global_store_b128 v[26:27], v[4:7], off
	;; [unrolled: 2-line block ×6, first 2 shown]
.LBB0_18:
	s_nop 0
	s_sendmsg sendmsg(MSG_DEALLOC_VGPRS)
	s_endpgm
	.section	.rodata,"a",@progbits
	.p2align	6, 0x0
	.amdhsa_kernel fft_rtc_back_len150_factors_10_5_3_wgs_60_tpt_5_halfLds_dp_ip_CI_unitstride_sbrr_C2R_dirReg
		.amdhsa_group_segment_fixed_size 0
		.amdhsa_private_segment_fixed_size 20
		.amdhsa_kernarg_size 88
		.amdhsa_user_sgpr_count 2
		.amdhsa_user_sgpr_dispatch_ptr 0
		.amdhsa_user_sgpr_queue_ptr 0
		.amdhsa_user_sgpr_kernarg_segment_ptr 1
		.amdhsa_user_sgpr_dispatch_id 0
		.amdhsa_user_sgpr_private_segment_size 0
		.amdhsa_wavefront_size32 1
		.amdhsa_uses_dynamic_stack 0
		.amdhsa_enable_private_segment 1
		.amdhsa_system_sgpr_workgroup_id_x 1
		.amdhsa_system_sgpr_workgroup_id_y 0
		.amdhsa_system_sgpr_workgroup_id_z 0
		.amdhsa_system_sgpr_workgroup_info 0
		.amdhsa_system_vgpr_workitem_id 0
		.amdhsa_next_free_vgpr 255
		.amdhsa_next_free_sgpr 32
		.amdhsa_reserve_vcc 1
		.amdhsa_float_round_mode_32 0
		.amdhsa_float_round_mode_16_64 0
		.amdhsa_float_denorm_mode_32 3
		.amdhsa_float_denorm_mode_16_64 3
		.amdhsa_fp16_overflow 0
		.amdhsa_workgroup_processor_mode 1
		.amdhsa_memory_ordered 1
		.amdhsa_forward_progress 0
		.amdhsa_round_robin_scheduling 0
		.amdhsa_exception_fp_ieee_invalid_op 0
		.amdhsa_exception_fp_denorm_src 0
		.amdhsa_exception_fp_ieee_div_zero 0
		.amdhsa_exception_fp_ieee_overflow 0
		.amdhsa_exception_fp_ieee_underflow 0
		.amdhsa_exception_fp_ieee_inexact 0
		.amdhsa_exception_int_div_zero 0
	.end_amdhsa_kernel
	.text
.Lfunc_end0:
	.size	fft_rtc_back_len150_factors_10_5_3_wgs_60_tpt_5_halfLds_dp_ip_CI_unitstride_sbrr_C2R_dirReg, .Lfunc_end0-fft_rtc_back_len150_factors_10_5_3_wgs_60_tpt_5_halfLds_dp_ip_CI_unitstride_sbrr_C2R_dirReg
                                        ; -- End function
	.section	.AMDGPU.csdata,"",@progbits
; Kernel info:
; codeLenInByte = 16732
; NumSgprs: 34
; NumVgprs: 255
; ScratchSize: 20
; MemoryBound: 0
; FloatMode: 240
; IeeeMode: 1
; LDSByteSize: 0 bytes/workgroup (compile time only)
; SGPRBlocks: 4
; VGPRBlocks: 31
; NumSGPRsForWavesPerEU: 34
; NumVGPRsForWavesPerEU: 255
; Occupancy: 5
; WaveLimiterHint : 1
; COMPUTE_PGM_RSRC2:SCRATCH_EN: 1
; COMPUTE_PGM_RSRC2:USER_SGPR: 2
; COMPUTE_PGM_RSRC2:TRAP_HANDLER: 0
; COMPUTE_PGM_RSRC2:TGID_X_EN: 1
; COMPUTE_PGM_RSRC2:TGID_Y_EN: 0
; COMPUTE_PGM_RSRC2:TGID_Z_EN: 0
; COMPUTE_PGM_RSRC2:TIDIG_COMP_CNT: 0
	.text
	.p2alignl 7, 3214868480
	.fill 96, 4, 3214868480
	.type	__hip_cuid_32382addf9b95aad,@object ; @__hip_cuid_32382addf9b95aad
	.section	.bss,"aw",@nobits
	.globl	__hip_cuid_32382addf9b95aad
__hip_cuid_32382addf9b95aad:
	.byte	0                               ; 0x0
	.size	__hip_cuid_32382addf9b95aad, 1

	.ident	"AMD clang version 19.0.0git (https://github.com/RadeonOpenCompute/llvm-project roc-6.4.0 25133 c7fe45cf4b819c5991fe208aaa96edf142730f1d)"
	.section	".note.GNU-stack","",@progbits
	.addrsig
	.addrsig_sym __hip_cuid_32382addf9b95aad
	.amdgpu_metadata
---
amdhsa.kernels:
  - .args:
      - .actual_access:  read_only
        .address_space:  global
        .offset:         0
        .size:           8
        .value_kind:     global_buffer
      - .offset:         8
        .size:           8
        .value_kind:     by_value
      - .actual_access:  read_only
        .address_space:  global
        .offset:         16
        .size:           8
        .value_kind:     global_buffer
      - .actual_access:  read_only
        .address_space:  global
        .offset:         24
        .size:           8
        .value_kind:     global_buffer
      - .offset:         32
        .size:           8
        .value_kind:     by_value
      - .actual_access:  read_only
        .address_space:  global
        .offset:         40
        .size:           8
        .value_kind:     global_buffer
      - .actual_access:  read_only
        .address_space:  global
        .offset:         48
        .size:           8
        .value_kind:     global_buffer
      - .offset:         56
        .size:           4
        .value_kind:     by_value
      - .actual_access:  read_only
        .address_space:  global
        .offset:         64
        .size:           8
        .value_kind:     global_buffer
      - .actual_access:  read_only
        .address_space:  global
        .offset:         72
        .size:           8
        .value_kind:     global_buffer
      - .address_space:  global
        .offset:         80
        .size:           8
        .value_kind:     global_buffer
    .group_segment_fixed_size: 0
    .kernarg_segment_align: 8
    .kernarg_segment_size: 88
    .language:       OpenCL C
    .language_version:
      - 2
      - 0
    .max_flat_workgroup_size: 60
    .name:           fft_rtc_back_len150_factors_10_5_3_wgs_60_tpt_5_halfLds_dp_ip_CI_unitstride_sbrr_C2R_dirReg
    .private_segment_fixed_size: 20
    .sgpr_count:     34
    .sgpr_spill_count: 0
    .symbol:         fft_rtc_back_len150_factors_10_5_3_wgs_60_tpt_5_halfLds_dp_ip_CI_unitstride_sbrr_C2R_dirReg.kd
    .uniform_work_group_size: 1
    .uses_dynamic_stack: false
    .vgpr_count:     255
    .vgpr_spill_count: 4
    .wavefront_size: 32
    .workgroup_processor_mode: 1
amdhsa.target:   amdgcn-amd-amdhsa--gfx1201
amdhsa.version:
  - 1
  - 2
...

	.end_amdgpu_metadata
